;; amdgpu-corpus repo=ggml-org/llama.cpp kind=compiled arch=gfx906 opt=O3
	.amdgcn_target "amdgcn-amd-amdhsa--gfx906"
	.amdhsa_code_object_version 6
	.section	.text._Z18ssm_scan_f32_groupILi4ELi128EEvPKfS1_S1_S1_S1_S1_PKiPfiiiiiiiiiiilllll,"axG",@progbits,_Z18ssm_scan_f32_groupILi4ELi128EEvPKfS1_S1_S1_S1_S1_PKiPfiiiiiiiiiiilllll,comdat
	.protected	_Z18ssm_scan_f32_groupILi4ELi128EEvPKfS1_S1_S1_S1_S1_PKiPfiiiiiiiiiiilllll ; -- Begin function _Z18ssm_scan_f32_groupILi4ELi128EEvPKfS1_S1_S1_S1_S1_PKiPfiiiiiiiiiiilllll
	.globl	_Z18ssm_scan_f32_groupILi4ELi128EEvPKfS1_S1_S1_S1_S1_PKiPfiiiiiiiiiiilllll
	.p2align	8
	.type	_Z18ssm_scan_f32_groupILi4ELi128EEvPKfS1_S1_S1_S1_S1_PKiPfiiiiiiiiiiilllll,@function
_Z18ssm_scan_f32_groupILi4ELi128EEvPKfS1_S1_S1_S1_S1_PKiPfiiiiiiiiiiilllll: ; @_Z18ssm_scan_f32_groupILi4ELi128EEvPKfS1_S1_S1_S1_S1_PKiPfiiiiiiiiiiilllll
; %bb.0:
	s_load_dwordx8 s[24:31], s[4:5], 0x70
	s_load_dwordx2 s[34:35], s[4:5], 0x90
	v_lshrrev_b32_e32 v1, 5, v0
	v_lshl_or_b32 v1, s6, 2, v1
	v_ashrrev_i32_e32 v2, 31, v1
	s_waitcnt lgkmcnt(0)
	v_or_b32_e32 v4, s29, v2
	v_mov_b32_e32 v3, 0
	v_cmp_ne_u64_e32 vcc, 0, v[3:4]
	s_mov_b32 s2, s7
                                        ; implicit-def: $vgpr3_vgpr4
	s_and_saveexec_b64 s[0:1], vcc
	s_xor_b64 s[6:7], exec, s[0:1]
	s_cbranch_execz .LBB0_2
; %bb.1:
	s_ashr_i32 s8, s29, 31
	s_add_u32 s0, s28, s8
	s_mov_b32 s9, s8
	s_addc_u32 s1, s29, s8
	s_xor_b64 s[10:11], s[0:1], s[8:9]
	v_cvt_f32_u32_e32 v3, s10
	v_cvt_f32_u32_e32 v4, s11
	s_sub_u32 s3, 0, s10
	s_subb_u32 s9, 0, s11
	v_ashrrev_i32_e32 v7, 31, v2
	v_madmk_f32 v3, v4, 0x4f800000, v3
	v_rcp_f32_e32 v3, v3
	v_mul_f32_e32 v3, 0x5f7ffffc, v3
	v_mul_f32_e32 v4, 0x2f800000, v3
	v_trunc_f32_e32 v4, v4
	v_madmk_f32 v3, v4, 0xcf800000, v3
	v_cvt_u32_f32_e32 v4, v4
	v_cvt_u32_f32_e32 v3, v3
	v_readfirstlane_b32 s12, v4
	v_readfirstlane_b32 s0, v3
	s_mul_i32 s1, s3, s12
	s_mul_hi_u32 s14, s3, s0
	s_mul_i32 s13, s9, s0
	s_add_i32 s1, s14, s1
	s_add_i32 s1, s1, s13
	s_mul_i32 s15, s3, s0
	s_mul_i32 s14, s0, s1
	s_mul_hi_u32 s16, s0, s15
	s_mul_hi_u32 s13, s0, s1
	s_add_u32 s14, s16, s14
	s_addc_u32 s13, 0, s13
	s_mul_hi_u32 s17, s12, s15
	s_mul_i32 s15, s12, s15
	s_add_u32 s14, s14, s15
	s_mul_hi_u32 s16, s12, s1
	s_addc_u32 s13, s13, s17
	s_addc_u32 s14, s16, 0
	s_mul_i32 s1, s12, s1
	s_add_u32 s1, s13, s1
	s_addc_u32 s13, 0, s14
	s_add_u32 s14, s0, s1
	s_cselect_b64 s[0:1], -1, 0
	s_cmp_lg_u64 s[0:1], 0
	s_addc_u32 s12, s12, s13
	s_mul_i32 s0, s3, s12
	s_mul_hi_u32 s1, s3, s14
	s_add_i32 s0, s1, s0
	s_mul_i32 s9, s9, s14
	s_add_i32 s0, s0, s9
	s_mul_i32 s3, s3, s14
	s_mul_hi_u32 s9, s12, s3
	s_mul_i32 s13, s12, s3
	s_mul_i32 s16, s14, s0
	s_mul_hi_u32 s3, s14, s3
	s_mul_hi_u32 s15, s14, s0
	s_add_u32 s3, s3, s16
	s_addc_u32 s15, 0, s15
	s_add_u32 s3, s3, s13
	s_mul_hi_u32 s1, s12, s0
	s_addc_u32 s3, s15, s9
	s_addc_u32 s1, s1, 0
	s_mul_i32 s0, s12, s0
	s_add_u32 s0, s3, s0
	s_addc_u32 s3, 0, s1
	s_add_u32 s9, s14, s0
	s_cselect_b64 s[0:1], -1, 0
	s_cmp_lg_u64 s[0:1], 0
	v_add_co_u32_e32 v3, vcc, v1, v7
	s_addc_u32 s3, s12, s3
	v_xor_b32_e32 v8, v3, v7
	v_mad_u64_u32 v[3:4], s[0:1], v8, s3, 0
	v_mul_hi_u32 v6, v8, s9
	v_addc_co_u32_e32 v5, vcc, v2, v7, vcc
	v_xor_b32_e32 v9, v5, v7
	v_add_co_u32_e32 v10, vcc, v6, v3
	v_addc_co_u32_e32 v11, vcc, 0, v4, vcc
	v_mad_u64_u32 v[3:4], s[0:1], v9, s9, 0
	v_mad_u64_u32 v[5:6], s[0:1], v9, s3, 0
	v_add_co_u32_e32 v3, vcc, v10, v3
	v_addc_co_u32_e32 v3, vcc, v11, v4, vcc
	v_addc_co_u32_e32 v4, vcc, 0, v6, vcc
	v_add_co_u32_e32 v5, vcc, v3, v5
	v_addc_co_u32_e32 v3, vcc, 0, v4, vcc
	v_mul_lo_u32 v6, s11, v5
	v_mul_lo_u32 v10, s10, v3
	v_mad_u64_u32 v[3:4], s[0:1], s10, v5, 0
	v_add3_u32 v4, v4, v10, v6
	v_sub_u32_e32 v6, v9, v4
	v_mov_b32_e32 v10, s11
	v_sub_co_u32_e32 v3, vcc, v8, v3
	v_subb_co_u32_e64 v6, s[0:1], v6, v10, vcc
	v_subrev_co_u32_e64 v8, s[0:1], s10, v3
	v_subbrev_co_u32_e64 v6, s[0:1], 0, v6, s[0:1]
	v_cmp_le_u32_e64 s[0:1], s11, v6
	v_subb_co_u32_e32 v4, vcc, v9, v4, vcc
	v_cndmask_b32_e64 v10, 0, -1, s[0:1]
	v_cmp_le_u32_e64 s[0:1], s10, v8
	v_cmp_le_u32_e32 vcc, s11, v4
	v_cndmask_b32_e64 v8, 0, -1, s[0:1]
	v_cmp_eq_u32_e64 s[0:1], s11, v6
	v_cndmask_b32_e64 v9, 0, -1, vcc
	v_cmp_le_u32_e32 vcc, s10, v3
	v_cndmask_b32_e64 v6, v10, v8, s[0:1]
	v_cndmask_b32_e64 v3, 0, -1, vcc
	v_cmp_eq_u32_e32 vcc, s11, v4
	v_add_co_u32_e64 v8, s[0:1], 2, v5
	v_add_co_u32_e64 v10, s[0:1], 1, v5
	v_cndmask_b32_e32 v3, v9, v3, vcc
	v_cmp_ne_u32_e32 vcc, 0, v6
	v_cndmask_b32_e32 v4, v10, v8, vcc
	v_cmp_ne_u32_e32 vcc, 0, v3
	v_cndmask_b32_e32 v3, v5, v4, vcc
	v_xor_b32_e32 v4, s8, v7
	v_xor_b32_e32 v3, v3, v4
	v_sub_co_u32_e32 v3, vcc, v3, v4
.LBB0_2:
	s_andn2_saveexec_b64 s[0:1], s[6:7]
	s_cbranch_execz .LBB0_4
; %bb.3:
	v_cvt_f32_u32_e32 v3, s28
	s_sub_i32 s3, 0, s28
	v_rcp_iflag_f32_e32 v3, v3
	v_mul_f32_e32 v3, 0x4f7ffffe, v3
	v_cvt_u32_f32_e32 v3, v3
	v_mul_lo_u32 v4, s3, v3
	v_mul_hi_u32 v4, v3, v4
	v_add_u32_e32 v3, v3, v4
	v_mul_hi_u32 v3, v1, v3
	v_mul_lo_u32 v4, v3, s28
	v_add_u32_e32 v5, 1, v3
	v_sub_u32_e32 v4, v1, v4
	v_subrev_u32_e32 v6, s28, v4
	v_cmp_le_u32_e32 vcc, s28, v4
	v_cndmask_b32_e32 v4, v4, v6, vcc
	v_cndmask_b32_e32 v3, v3, v5, vcc
	v_add_u32_e32 v5, 1, v3
	v_cmp_le_u32_e32 vcc, s28, v4
	v_cndmask_b32_e32 v3, v3, v5, vcc
.LBB0_4:
	s_or_b64 exec, exec, s[0:1]
	s_load_dwordx16 s[8:23], s[4:5], 0x0
	s_load_dwordx8 s[36:43], s[4:5], 0x40
	s_ashr_i32 s3, s2, 31
	s_lshl_b64 s[0:1], s[2:3], 2
	v_mul_lo_u32 v4, v3, s28
	s_waitcnt lgkmcnt(0)
	s_add_u32 s0, s20, s0
	s_addc_u32 s1, s21, s1
	s_load_dword s0, s[0:1], 0x0
	v_mul_lo_u32 v10, s36, v3
	v_and_b32_e32 v19, 31, v0
	v_sub_u32_e32 v0, v1, v4
	v_lshlrev_b32_e32 v12, 9, v0
	s_waitcnt lgkmcnt(0)
	s_mul_i32 s0, s0, s37
	s_ashr_i32 s1, s0, 31
	s_add_u32 s0, s8, s0
	s_addc_u32 s1, s9, s1
	v_ashrrev_i32_e32 v11, 31, v10
	v_mov_b32_e32 v4, s1
	v_add_co_u32_e32 v5, vcc, s0, v10
	v_addc_co_u32_e32 v4, vcc, v4, v11, vcc
	v_ashrrev_i32_e32 v13, 31, v12
	v_add_co_u32_e32 v0, vcc, v5, v12
	v_addc_co_u32_e32 v5, vcc, v4, v13, vcc
	v_lshlrev_b32_e32 v14, 2, v19
	v_add_co_u32_e32 v4, vcc, v0, v14
	v_addc_co_u32_e32 v5, vcc, 0, v5, vcc
	global_load_dword v15, v[4:5], off
	global_load_dword v16, v[4:5], off offset:128
	global_load_dword v18, v[4:5], off offset:256
	;; [unrolled: 1-line block ×3, first 2 shown]
	v_cmp_lt_i64_e64 s[0:1], s[34:35], 1
	s_and_b64 vcc, exec, s[0:1]
	s_cbranch_vccnz .LBB0_18
; %bb.5:
	s_or_b64 s[0:1], s[26:27], s[30:31]
	s_mov_b32 s0, 0
	s_cmp_lg_u64 s[0:1], 0
	s_cbranch_scc0 .LBB0_20
; %bb.6:
	s_ashr_i32 s6, s31, 31
	s_add_u32 s0, s30, s6
	s_mov_b32 s7, s6
	s_addc_u32 s1, s31, s6
	s_xor_b64 s[8:9], s[0:1], s[6:7]
	v_cvt_f32_u32_e32 v0, s8
	v_cvt_f32_u32_e32 v4, s9
	s_sub_u32 s31, 0, s8
	s_subb_u32 s33, 0, s9
	v_madmk_f32 v0, v4, 0x4f800000, v0
	v_rcp_f32_e32 v0, v0
	v_mul_f32_e32 v0, 0x5f7ffffc, v0
	v_mul_f32_e32 v4, 0x2f800000, v0
	v_trunc_f32_e32 v4, v4
	v_madmk_f32 v0, v4, 0xcf800000, v0
	v_cvt_u32_f32_e32 v4, v4
	v_cvt_u32_f32_e32 v0, v0
	v_readfirstlane_b32 s36, v4
	v_readfirstlane_b32 s20, v0
	s_mul_i32 s21, s31, s36
	s_mul_hi_u32 s45, s31, s20
	s_mul_i32 s44, s33, s20
	s_add_i32 s21, s45, s21
	s_add_i32 s21, s21, s44
	s_mul_i32 s46, s31, s20
	s_mul_i32 s45, s20, s21
	s_mul_hi_u32 s47, s20, s46
	s_mul_hi_u32 s44, s20, s21
	s_add_u32 s45, s47, s45
	s_addc_u32 s44, 0, s44
	s_mul_hi_u32 s48, s36, s46
	s_mul_i32 s46, s36, s46
	s_add_u32 s45, s45, s46
	s_mul_hi_u32 s47, s36, s21
	s_addc_u32 s44, s44, s48
	s_addc_u32 s45, s47, 0
	s_mul_i32 s21, s36, s21
	s_add_u32 s21, s44, s21
	s_addc_u32 s44, 0, s45
	s_add_u32 s45, s20, s21
	s_cselect_b64 s[20:21], -1, 0
	s_cmp_lg_u64 s[20:21], 0
	s_addc_u32 s36, s36, s44
	s_mul_i32 s20, s31, s36
	s_mul_hi_u32 s21, s31, s45
	s_add_i32 s20, s21, s20
	s_mul_i32 s33, s33, s45
	s_add_i32 s20, s20, s33
	s_mul_i32 s31, s31, s45
	s_mul_hi_u32 s33, s36, s31
	s_mul_i32 s44, s36, s31
	s_mul_i32 s47, s45, s20
	s_mul_hi_u32 s31, s45, s31
	s_mul_hi_u32 s46, s45, s20
	s_add_u32 s31, s31, s47
	s_addc_u32 s46, 0, s46
	s_add_u32 s31, s31, s44
	s_mul_hi_u32 s21, s36, s20
	s_addc_u32 s31, s46, s33
	s_addc_u32 s21, s21, 0
	s_mul_i32 s20, s36, s20
	s_add_u32 s20, s31, s20
	s_addc_u32 s31, 0, s21
	s_add_u32 s33, s45, s20
	s_cselect_b64 s[20:21], -1, 0
	s_cmp_lg_u64 s[20:21], 0
	s_addc_u32 s31, s36, s31
	s_ashr_i32 s20, s27, 31
	s_add_u32 s44, s26, s20
	s_mov_b32 s21, s20
	s_addc_u32 s45, s27, s20
	s_xor_b64 s[44:45], s[44:45], s[20:21]
	s_mul_i32 s46, s44, s31
	s_mul_hi_u32 s47, s44, s33
	s_mul_hi_u32 s36, s44, s31
	s_add_u32 s46, s47, s46
	s_addc_u32 s36, 0, s36
	s_mul_hi_u32 s48, s45, s33
	s_mul_i32 s33, s45, s33
	s_add_u32 s33, s46, s33
	s_mul_hi_u32 s47, s45, s31
	s_addc_u32 s33, s36, s48
	s_addc_u32 s36, s47, 0
	s_mul_i32 s31, s45, s31
	s_add_u32 s31, s33, s31
	s_addc_u32 s33, 0, s36
	s_mul_i32 s36, s8, s33
	s_mul_hi_u32 s46, s8, s31
	s_add_i32 s36, s46, s36
	s_mul_i32 s46, s9, s31
	s_add_i32 s36, s36, s46
	s_sub_i32 s48, s45, s36
	s_mul_i32 s46, s8, s31
	s_sub_u32 s44, s44, s46
	s_cselect_b64 s[46:47], -1, 0
	s_cmp_lg_u64 s[46:47], 0
	s_subb_u32 s50, s48, s9
	s_sub_u32 s51, s44, s8
	s_cselect_b64 s[48:49], -1, 0
	s_cmp_lg_u64 s[48:49], 0
	s_subb_u32 s48, s50, 0
	s_cmp_ge_u32 s48, s9
	s_cselect_b32 s49, -1, 0
	s_cmp_ge_u32 s51, s8
	s_cselect_b32 s50, -1, 0
	s_cmp_eq_u32 s48, s9
	s_cselect_b32 s48, s50, s49
	s_add_u32 s49, s31, 1
	s_addc_u32 s50, s33, 0
	s_add_u32 s51, s31, 2
	s_addc_u32 s52, s33, 0
	s_cmp_lg_u32 s48, 0
	s_cselect_b32 s48, s51, s49
	s_cselect_b32 s49, s52, s50
	s_cmp_lg_u64 s[46:47], 0
	s_subb_u32 s36, s45, s36
	s_cmp_ge_u32 s36, s9
	s_cselect_b32 s45, -1, 0
	s_cmp_ge_u32 s44, s8
	s_cselect_b32 s8, -1, 0
	s_cmp_eq_u32 s36, s9
	s_cselect_b32 s8, s8, s45
	s_cmp_lg_u32 s8, 0
	s_cselect_b32 s9, s49, s33
	s_cselect_b32 s8, s48, s31
	s_xor_b64 s[6:7], s[20:21], s[6:7]
	s_xor_b64 s[8:9], s[8:9], s[6:7]
	s_sub_u32 s8, s8, s6
	s_subb_u32 s9, s9, s7
	s_load_dwordx4 s[4:7], s[4:5], 0x60
	s_cbranch_execnz .LBB0_8
.LBB0_7:
	v_cvt_f32_u32_e32 v0, s30
	s_sub_i32 s0, 0, s30
	s_mov_b32 s9, 0
	v_rcp_iflag_f32_e32 v0, v0
	v_mul_f32_e32 v0, 0x4f7ffffe, v0
	v_cvt_u32_f32_e32 v0, v0
	v_readfirstlane_b32 s1, v0
	s_mul_i32 s0, s0, s1
	s_mul_hi_u32 s0, s1, s0
	s_add_i32 s1, s1, s0
	s_mul_hi_u32 s0, s26, s1
	s_waitcnt lgkmcnt(0)
	s_mul_i32 s7, s0, s30
	s_sub_i32 s7, s26, s7
	s_add_i32 s1, s0, 1
	s_sub_i32 s8, s7, s30
	s_cmp_ge_u32 s7, s30
	s_cselect_b32 s0, s1, s0
	s_cselect_b32 s7, s8, s7
	s_add_i32 s1, s0, 1
	s_cmp_ge_u32 s7, s30
	s_cselect_b32 s8, s1, s0
.LBB0_8:
	v_ashrrev_i32_e32 v0, 31, v3
	v_mov_b32_e32 v4, 0
	v_or_b32_e32 v5, s9, v0
	v_cmp_ne_u64_e32 vcc, 0, v[4:5]
                                        ; implicit-def: $vgpr8_vgpr9
	s_and_saveexec_b64 s[0:1], vcc
	s_xor_b64 s[20:21], exec, s[0:1]
	s_cbranch_execz .LBB0_10
; %bb.9:
	s_ashr_i32 s30, s9, 31
	s_add_u32 s0, s8, s30
	s_mov_b32 s31, s30
	s_addc_u32 s1, s9, s30
	s_xor_b64 s[44:45], s[0:1], s[30:31]
	v_cvt_f32_u32_e32 v5, s44
	v_cvt_f32_u32_e32 v6, s45
	s_waitcnt lgkmcnt(0)
	s_sub_u32 s7, 0, s44
	s_subb_u32 s9, 0, s45
	v_ashrrev_i32_e32 v9, 31, v0
	v_madmk_f32 v5, v6, 0x4f800000, v5
	v_rcp_f32_e32 v5, v5
	v_mul_f32_e32 v5, 0x5f7ffffc, v5
	v_mul_f32_e32 v6, 0x2f800000, v5
	v_trunc_f32_e32 v6, v6
	v_madmk_f32 v5, v6, 0xcf800000, v5
	v_cvt_u32_f32_e32 v6, v6
	v_cvt_u32_f32_e32 v5, v5
	v_readfirstlane_b32 s31, v6
	v_readfirstlane_b32 s0, v5
	s_mul_i32 s1, s7, s31
	s_mul_hi_u32 s36, s7, s0
	s_mul_i32 s33, s9, s0
	s_add_i32 s1, s36, s1
	s_add_i32 s1, s1, s33
	s_mul_i32 s46, s7, s0
	s_mul_i32 s36, s0, s1
	s_mul_hi_u32 s47, s0, s46
	s_mul_hi_u32 s33, s0, s1
	s_add_u32 s36, s47, s36
	s_addc_u32 s33, 0, s33
	s_mul_hi_u32 s48, s31, s46
	s_mul_i32 s46, s31, s46
	s_add_u32 s36, s36, s46
	s_mul_hi_u32 s47, s31, s1
	s_addc_u32 s33, s33, s48
	s_addc_u32 s36, s47, 0
	s_mul_i32 s1, s31, s1
	s_add_u32 s1, s33, s1
	s_addc_u32 s33, 0, s36
	s_add_u32 s36, s0, s1
	s_cselect_b64 s[0:1], -1, 0
	s_cmp_lg_u64 s[0:1], 0
	s_addc_u32 s31, s31, s33
	s_mul_i32 s0, s7, s31
	s_mul_hi_u32 s1, s7, s36
	s_add_i32 s0, s1, s0
	s_mul_i32 s9, s9, s36
	s_add_i32 s0, s0, s9
	s_mul_i32 s7, s7, s36
	s_mul_hi_u32 s9, s31, s7
	s_mul_i32 s33, s31, s7
	s_mul_i32 s47, s36, s0
	s_mul_hi_u32 s7, s36, s7
	s_mul_hi_u32 s46, s36, s0
	s_add_u32 s7, s7, s47
	s_addc_u32 s46, 0, s46
	s_add_u32 s7, s7, s33
	s_mul_hi_u32 s1, s31, s0
	s_addc_u32 s7, s46, s9
	s_addc_u32 s1, s1, 0
	s_mul_i32 s0, s31, s0
	s_add_u32 s0, s7, s0
	s_addc_u32 s7, 0, s1
	s_add_u32 s9, s36, s0
	s_cselect_b64 s[0:1], -1, 0
	s_cmp_lg_u64 s[0:1], 0
	v_add_co_u32_e32 v5, vcc, v3, v9
	s_addc_u32 s7, s31, s7
	v_xor_b32_e32 v20, v5, v9
	v_mad_u64_u32 v[5:6], s[0:1], v20, s7, 0
	v_mul_hi_u32 v7, v20, s9
	v_addc_co_u32_e32 v0, vcc, v0, v9, vcc
	v_xor_b32_e32 v0, v0, v9
	v_add_co_u32_e32 v21, vcc, v7, v5
	v_addc_co_u32_e32 v22, vcc, 0, v6, vcc
	v_mad_u64_u32 v[5:6], s[0:1], v0, s9, 0
	v_mad_u64_u32 v[7:8], s[0:1], v0, s7, 0
	v_add_co_u32_e32 v5, vcc, v21, v5
	v_addc_co_u32_e32 v5, vcc, v22, v6, vcc
	v_addc_co_u32_e32 v6, vcc, 0, v8, vcc
	v_add_co_u32_e32 v7, vcc, v5, v7
	v_addc_co_u32_e32 v5, vcc, 0, v6, vcc
	v_mul_lo_u32 v8, s45, v7
	v_mul_lo_u32 v21, s44, v5
	v_mad_u64_u32 v[5:6], s[0:1], s44, v7, 0
	v_add3_u32 v6, v6, v21, v8
	v_sub_u32_e32 v8, v0, v6
	v_mov_b32_e32 v21, s45
	v_sub_co_u32_e32 v5, vcc, v20, v5
	v_subb_co_u32_e64 v8, s[0:1], v8, v21, vcc
	v_subrev_co_u32_e64 v20, s[0:1], s44, v5
	v_subbrev_co_u32_e64 v8, s[0:1], 0, v8, s[0:1]
	v_cmp_le_u32_e64 s[0:1], s45, v8
	v_subb_co_u32_e32 v0, vcc, v0, v6, vcc
	v_cndmask_b32_e64 v21, 0, -1, s[0:1]
	v_cmp_le_u32_e64 s[0:1], s44, v20
	v_cmp_le_u32_e32 vcc, s45, v0
	v_cndmask_b32_e64 v20, 0, -1, s[0:1]
	v_cmp_eq_u32_e64 s[0:1], s45, v8
	v_cndmask_b32_e64 v6, 0, -1, vcc
	v_cmp_le_u32_e32 vcc, s44, v5
	v_cndmask_b32_e64 v8, v21, v20, s[0:1]
	v_cndmask_b32_e64 v5, 0, -1, vcc
	v_cmp_eq_u32_e32 vcc, s45, v0
	v_add_co_u32_e64 v20, s[0:1], 2, v7
	v_add_co_u32_e64 v21, s[0:1], 1, v7
	v_cndmask_b32_e32 v0, v6, v5, vcc
	v_cmp_ne_u32_e32 vcc, 0, v8
	v_cndmask_b32_e32 v5, v21, v20, vcc
	v_cmp_ne_u32_e32 vcc, 0, v0
	v_cndmask_b32_e32 v0, v7, v5, vcc
	v_xor_b32_e32 v5, s30, v9
	v_xor_b32_e32 v0, v0, v5
	v_sub_co_u32_e32 v8, vcc, v0, v5
.LBB0_10:
	s_or_saveexec_b64 s[0:1], s[20:21]
	v_mov_b32_e32 v5, v3
	s_xor_b64 exec, exec, s[0:1]
	s_cbranch_execz .LBB0_12
; %bb.11:
	v_cvt_f32_u32_e32 v0, s8
	s_waitcnt lgkmcnt(0)
	s_sub_i32 s7, 0, s8
	v_rcp_iflag_f32_e32 v0, v0
	v_mul_f32_e32 v0, 0x4f7ffffe, v0
	v_cvt_u32_f32_e32 v0, v0
	v_mul_lo_u32 v6, s7, v0
	v_mul_hi_u32 v6, v0, v6
	v_add_u32_e32 v0, v0, v6
	v_mul_hi_u32 v0, v5, v0
	v_mul_lo_u32 v6, v0, s8
	v_add_u32_e32 v7, 1, v0
	v_sub_u32_e32 v6, v5, v6
	v_subrev_u32_e32 v8, s8, v6
	v_cmp_le_u32_e32 vcc, s8, v6
	v_cndmask_b32_e32 v6, v6, v8, vcc
	v_cndmask_b32_e32 v0, v0, v7, vcc
	v_add_u32_e32 v7, 1, v0
	v_cmp_le_u32_e32 vcc, s8, v6
	v_cndmask_b32_e32 v8, v0, v7, vcc
.LBB0_12:
	s_or_b64 exec, exec, s[0:1]
	s_waitcnt lgkmcnt(0)
	s_mul_i32 s30, s6, s2
	s_mul_i32 s6, s28, s27
	s_mul_hi_u32 s8, s28, s26
	s_add_i32 s6, s8, s6
	s_mul_i32 s8, s29, s26
	s_add_i32 s8, s6, s8
	s_mul_i32 s6, s28, s26
	s_mul_i32 s3, s6, s3
	s_mul_hi_u32 s9, s6, s2
	s_add_i32 s3, s9, s3
	s_mul_i32 s8, s8, s2
	s_add_i32 s3, s3, s8
	s_mul_i32 s8, s6, s2
	s_mul_i32 s9, s8, s35
	s_mul_hi_u32 s26, s8, s34
	s_mul_i32 s3, s3, s34
	s_add_i32 s9, s26, s9
	s_mul_i32 s1, s39, s2
	s_mul_i32 s21, s41, s2
	s_add_i32 s9, s9, s3
	s_mul_i32 s8, s8, s34
	s_ashr_i32 s20, s43, 2
	s_ashr_i32 s0, s38, 2
	;; [unrolled: 1-line block ×5, first 2 shown]
	s_lshl_b64 s[8:9], s[8:9], 2
	s_add_u32 s3, s22, s8
	s_addc_u32 s8, s23, s9
	v_lshlrev_b64 v[6:7], 2, v[1:2]
	s_add_u32 s1, s10, s1
	s_addc_u32 s7, s11, s7
	v_mul_lo_u32 v9, s42, v3
	v_ashrrev_i64 v[2:3], 30, v[4:5]
	v_mov_b32_e32 v1, s7
	v_add_co_u32_e32 v0, vcc, s1, v6
	s_add_u32 s1, s12, s21
	v_addc_co_u32_e32 v1, vcc, v1, v7, vcc
	s_addc_u32 s7, s13, s33
	v_mov_b32_e32 v4, s7
	v_add_co_u32_e32 v2, vcc, s1, v2
	v_addc_co_u32_e32 v3, vcc, v4, v3, vcc
	v_ashrrev_i32_e32 v5, 31, v9
	v_mov_b32_e32 v20, s15
	v_add_co_u32_e32 v4, vcc, s14, v9
	v_addc_co_u32_e32 v5, vcc, v20, v5, vcc
	v_mbcnt_lo_u32_b32 v20, -1, 0
	v_mbcnt_hi_u32_b32 v24, -1, v20
	v_mov_b32_e32 v9, s8
	v_add_co_u32_e32 v6, vcc, s3, v6
	v_and_b32_e32 v20, 0x60, v24
	v_addc_co_u32_e32 v7, vcc, v9, v7, vcc
	v_add_u32_e32 v25, 32, v20
	v_xor_b32_e32 v20, 16, v24
	s_ashr_i32 s8, s40, 2
	v_cmp_lt_i32_e32 vcc, v20, v25
	v_xor_b32_e32 v21, 8, v24
	s_mul_i32 s3, s4, s2
	s_ashr_i32 s12, s5, 2
	s_ashr_i32 s9, s8, 31
	;; [unrolled: 1-line block ×3, first 2 shown]
	v_cndmask_b32_e32 v20, v24, v20, vcc
	v_cmp_lt_i32_e32 vcc, v21, v25
	v_xor_b32_e32 v22, 4, v24
	s_bfe_i64 s[4:5], s[6:7], 0x200000
	s_ashr_i32 s10, s3, 31
	s_ashr_i32 s21, s20, 31
	;; [unrolled: 1-line block ×3, first 2 shown]
	v_cndmask_b32_e32 v21, v24, v21, vcc
	v_cmp_lt_i32_e32 vcc, v22, v25
	v_xor_b32_e32 v23, 2, v24
	s_lshl_b64 s[4:5], s[4:5], 2
	s_lshl_b64 s[6:7], s[8:9], 2
	;; [unrolled: 1-line block ×3, first 2 shown]
	v_cndmask_b32_e32 v22, v24, v22, vcc
	v_cmp_lt_i32_e32 vcc, v23, v25
	v_xor_b32_e32 v26, 1, v24
	s_add_u32 s0, s16, s3
	v_cndmask_b32_e32 v23, v24, v23, vcc
	v_cmp_lt_i32_e32 vcc, v26, v25
	s_addc_u32 s1, s17, s10
	v_cndmask_b32_e32 v24, v24, v26, vcc
	v_cmp_eq_u32_e32 vcc, 0, v19
	v_mov_b32_e32 v25, s1
	v_add_co_u32_e64 v19, s[0:1], s0, v14
	v_addc_co_u32_e64 v25, s[0:1], 0, v25, s[0:1]
	s_lshl_b64 s[10:11], s[20:21], 2
	s_add_u32 s0, s18, s30
	s_addc_u32 s1, s19, s31
	v_lshlrev_b32_e32 v8, 9, v8
	v_mov_b32_e32 v27, s1
	v_add_co_u32_e64 v26, s[0:1], s0, v14
	v_ashrrev_i32_e32 v9, 31, v8
	v_lshlrev_b32_e32 v20, 2, v20
	v_lshlrev_b32_e32 v21, 2, v21
	;; [unrolled: 1-line block ×5, first 2 shown]
	v_addc_co_u32_e64 v27, s[0:1], 0, v27, s[0:1]
	s_lshl_b64 s[12:13], s[12:13], 2
	s_mov_b32 s3, 0x41a00000
	s_mov_b32 s16, 0x3fb8aa3b
	;; [unrolled: 1-line block ×8, first 2 shown]
	v_mov_b32_e32 v28, 0x3f2aaada
	v_mov_b32_e32 v29, 0x7f800000
	global_load_dword v30, v[2:3], off
	s_waitcnt vmcnt(0)
	v_cmp_ge_f32_e64 s[0:1], s3, v30
	s_and_saveexec_b64 s[14:15], s[0:1]
	s_cbranch_execz .LBB0_14
.LBB0_13:
	v_mul_f32_e32 v31, 0x3fb8aa3b, v30
	v_rndne_f32_e32 v32, v31
	v_sub_f32_e32 v33, v31, v32
	v_fma_f32 v31, v30, s16, -v31
	v_fmac_f32_e32 v31, 0x32a5705f, v30
	v_add_f32_e32 v31, v33, v31
	v_cvt_i32_f32_e32 v32, v32
	v_exp_f32_e32 v31, v31
	v_cmp_ngt_f32_e64 s[0:1], s17, v30
	v_ldexp_f32 v31, v31, v32
	v_cndmask_b32_e64 v31, 0, v31, s[0:1]
	v_cmp_nlt_f32_e64 s[0:1], s18, v30
	v_cndmask_b32_e64 v32, v29, v31, s[0:1]
	v_add_f32_e32 v33, 1.0, v32
	v_cvt_f64_f32_e32 v[30:31], v33
	v_add_f32_e32 v34, -1.0, v33
	v_sub_f32_e32 v35, v34, v33
	v_sub_f32_e32 v34, v32, v34
	v_frexp_exp_i32_f64_e32 v30, v[30:31]
	v_frexp_mant_f32_e32 v31, v33
	v_cmp_gt_f32_e64 s[0:1], s20, v31
	v_add_f32_e32 v31, 1.0, v35
	v_add_f32_e32 v31, v34, v31
	v_subbrev_co_u32_e64 v30, s[0:1], 0, v30, s[0:1]
	v_sub_u32_e32 v34, 0, v30
	v_ldexp_f32 v33, v33, v34
	v_ldexp_f32 v31, v31, v34
	v_add_f32_e32 v34, -1.0, v33
	v_add_f32_e32 v37, 1.0, v33
	v_add_f32_e32 v35, 1.0, v34
	v_add_f32_e32 v38, -1.0, v37
	v_sub_f32_e32 v35, v33, v35
	v_sub_f32_e32 v33, v33, v38
	v_add_f32_e32 v35, v31, v35
	v_add_f32_e32 v31, v31, v33
	;; [unrolled: 1-line block ×3, first 2 shown]
	v_rcp_f32_e32 v38, v33
	v_add_f32_e32 v36, v34, v35
	v_sub_f32_e32 v34, v34, v36
	v_add_f32_e32 v34, v35, v34
	v_sub_f32_e32 v35, v37, v33
	v_add_f32_e32 v31, v31, v35
	v_mul_f32_e32 v35, v36, v38
	v_mul_f32_e32 v37, v33, v35
	v_fma_f32 v39, v35, v33, -v37
	v_fmac_f32_e32 v39, v35, v31
	v_add_f32_e32 v40, v37, v39
	v_sub_f32_e32 v41, v36, v40
	v_sub_f32_e32 v36, v36, v41
	;; [unrolled: 1-line block ×4, first 2 shown]
	v_add_f32_e32 v34, v34, v36
	v_sub_f32_e32 v36, v37, v39
	v_add_f32_e32 v34, v36, v34
	v_add_f32_e32 v36, v41, v34
	v_mul_f32_e32 v37, v38, v36
	v_mul_f32_e32 v39, v33, v37
	v_fma_f32 v33, v37, v33, -v39
	v_fmac_f32_e32 v33, v37, v31
	v_sub_f32_e32 v31, v41, v36
	v_add_f32_e32 v31, v34, v31
	v_add_f32_e32 v34, v39, v33
	v_sub_f32_e32 v40, v36, v34
	v_sub_f32_e32 v36, v36, v40
	;; [unrolled: 1-line block ×4, first 2 shown]
	v_add_f32_e32 v31, v31, v34
	v_sub_f32_e32 v33, v39, v33
	v_cvt_f32_i32_e32 v30, v30
	v_add_f32_e32 v31, v33, v31
	v_add_f32_e32 v33, v35, v37
	;; [unrolled: 1-line block ×3, first 2 shown]
	v_sub_f32_e32 v34, v33, v35
	v_mul_f32_e32 v31, v38, v31
	v_sub_f32_e32 v34, v37, v34
	v_add_f32_e32 v31, v34, v31
	v_mul_f32_e32 v37, 0x3f317218, v30
	v_add_f32_e32 v34, v33, v31
	v_fma_f32 v38, v30, s21, -v37
	v_mul_f32_e32 v35, v34, v34
	v_mov_b32_e32 v36, 0x3ecc95a3
	v_fmac_f32_e32 v38, 0xb102e308, v30
	v_sub_f32_e32 v30, v34, v33
	v_fmac_f32_e32 v36, 0x3e9b6dac, v35
	v_sub_f32_e32 v30, v31, v30
	v_add_f32_e32 v31, v37, v38
	v_fma_f32 v36, v35, v36, v28
	v_sub_f32_e32 v33, v31, v37
	v_ldexp_f32 v37, v34, 1
	v_mul_f32_e32 v34, v34, v35
	v_mul_f32_e32 v34, v34, v36
	v_add_f32_e32 v35, v37, v34
	v_sub_f32_e32 v36, v35, v37
	v_ldexp_f32 v30, v30, 1
	v_sub_f32_e32 v34, v34, v36
	v_add_f32_e32 v30, v30, v34
	v_add_f32_e32 v34, v35, v30
	v_sub_f32_e32 v35, v34, v35
	v_sub_f32_e32 v30, v30, v35
	v_add_f32_e32 v35, v31, v34
	v_sub_f32_e32 v36, v35, v31
	v_sub_f32_e32 v37, v35, v36
	;; [unrolled: 1-line block ×5, first 2 shown]
	v_add_f32_e32 v31, v34, v31
	v_add_f32_e32 v34, v33, v30
	v_sub_f32_e32 v36, v34, v33
	v_sub_f32_e32 v37, v34, v36
	;; [unrolled: 1-line block ×4, first 2 shown]
	v_add_f32_e32 v31, v34, v31
	v_add_f32_e32 v30, v30, v33
	;; [unrolled: 1-line block ×3, first 2 shown]
	v_sub_f32_e32 v34, v33, v35
	v_sub_f32_e32 v31, v31, v34
	v_add_f32_e32 v30, v30, v31
	v_add_f32_e32 v30, v33, v30
	v_cmp_neq_f32_e64 s[0:1], s19, v32
	v_cndmask_b32_e64 v30, v29, v30, s[0:1]
	v_cmp_gt_f32_e64 s[0:1], s26, v32
	v_cndmask_b32_e64 v30, v30, v32, s[0:1]
.LBB0_14:                               ; =>This Inner Loop Header: Depth=1
	s_or_b64 exec, exec, s[14:15]
	global_load_dword v33, v[4:5], off
	global_load_dword v34, v[0:1], off
	v_add_co_u32_e64 v31, s[0:1], v19, v8
	v_addc_co_u32_e64 v32, s[0:1], v25, v9, s[0:1]
	global_load_dword v35, v[31:32], off
	global_load_dword v36, v[31:32], off offset:128
	global_load_dword v37, v[31:32], off offset:256
	;; [unrolled: 1-line block ×3, first 2 shown]
	v_add_co_u32_e64 v31, s[0:1], v26, v8
	v_addc_co_u32_e64 v32, s[0:1], v27, v9, s[0:1]
	global_load_dword v39, v[31:32], off
	global_load_dword v40, v[31:32], off offset:128
	global_load_dword v41, v[31:32], off offset:256
	;; [unrolled: 1-line block ×3, first 2 shown]
	s_waitcnt vmcnt(9)
	v_mul_f32_e32 v43, v30, v33
	v_mul_f32_e32 v32, 0x3fb8aa3b, v43
	s_waitcnt vmcnt(8)
	v_mul_f32_e32 v31, v30, v34
	v_fma_f32 v33, v43, s16, -v32
	v_rndne_f32_e32 v34, v32
	v_fmac_f32_e32 v33, 0x32a5705f, v43
	v_sub_f32_e32 v32, v32, v34
	v_add_f32_e32 v32, v32, v33
	s_waitcnt vmcnt(7)
	v_mul_f32_e32 v30, v31, v35
	v_cvt_i32_f32_e32 v34, v34
	v_exp_f32_e32 v35, v32
	v_cmp_ngt_f32_e64 s[0:1], s17, v43
	s_waitcnt vmcnt(6)
	v_mul_f32_e32 v33, v31, v36
	s_waitcnt vmcnt(5)
	v_mul_f32_e32 v32, v31, v37
	v_ldexp_f32 v34, v35, v34
	v_cndmask_b32_e64 v34, 0, v34, s[0:1]
	v_cmp_nlt_f32_e64 s[0:1], s18, v43
	v_cndmask_b32_e64 v34, v29, v34, s[0:1]
	v_fmac_f32_e32 v30, v34, v15
	v_fmac_f32_e32 v33, v34, v16
	s_waitcnt vmcnt(3)
	v_fma_f32 v15, v39, v30, 0
	v_mul_f32_e32 v31, v31, v38
	v_fmac_f32_e32 v32, v34, v18
	s_waitcnt vmcnt(2)
	v_fmac_f32_e32 v15, v40, v33
	s_waitcnt vmcnt(1)
	v_fmac_f32_e32 v15, v41, v32
	v_fmac_f32_e32 v31, v34, v17
	s_waitcnt vmcnt(0)
	v_fmac_f32_e32 v15, v42, v31
	ds_bpermute_b32 v16, v20, v15
	s_waitcnt lgkmcnt(0)
	v_add_f32_e32 v15, v15, v16
	ds_bpermute_b32 v16, v21, v15
	s_waitcnt lgkmcnt(0)
	v_add_f32_e32 v15, v15, v16
	;; [unrolled: 3-line block ×4, first 2 shown]
	ds_bpermute_b32 v16, v24, v15
	s_and_saveexec_b64 s[0:1], vcc
	s_cbranch_execz .LBB0_16
; %bb.15:                               ;   in Loop: Header=BB0_14 Depth=1
	s_waitcnt lgkmcnt(0)
	v_add_f32_e32 v15, v15, v16
	global_store_dword v[6:7], v15, off
.LBB0_16:                               ;   in Loop: Header=BB0_14 Depth=1
	s_or_b64 exec, exec, s[0:1]
	v_mov_b32_e32 v15, s5
	v_add_co_u32_e64 v6, s[0:1], s4, v6
	v_addc_co_u32_e64 v7, s[0:1], v7, v15, s[0:1]
	v_mov_b32_e32 v15, s7
	v_add_co_u32_e64 v2, s[0:1], s6, v2
	v_addc_co_u32_e64 v3, s[0:1], v3, v15, s[0:1]
	;; [unrolled: 3-line block ×3, first 2 shown]
	v_mov_b32_e32 v15, s11
	v_add_co_u32_e64 v19, s[0:1], s10, v19
	s_add_u32 s34, s34, -1
	v_addc_co_u32_e64 v25, s[0:1], v25, v15, s[0:1]
	s_addc_u32 s35, s35, -1
	v_mov_b32_e32 v15, s13
	v_add_co_u32_e64 v26, s[0:1], s12, v26
	s_cmp_eq_u64 s[34:35], 0
	v_addc_co_u32_e64 v27, s[0:1], v27, v15, s[0:1]
	s_cbranch_scc1 .LBB0_19
; %bb.17:                               ;   in Loop: Header=BB0_14 Depth=1
	v_mov_b32_e32 v15, v30
	s_waitcnt lgkmcnt(0)
	v_mov_b32_e32 v16, v33
	v_mov_b32_e32 v18, v32
	v_mov_b32_e32 v17, v31
	global_load_dword v30, v[2:3], off
	s_waitcnt vmcnt(0)
	v_cmp_ge_f32_e64 s[0:1], s3, v30
	s_and_saveexec_b64 s[14:15], s[0:1]
	s_cbranch_execnz .LBB0_13
	s_branch .LBB0_14
.LBB0_18:
	s_waitcnt vmcnt(0)
	v_mov_b32_e32 v31, v17
	v_mov_b32_e32 v32, v18
	;; [unrolled: 1-line block ×4, first 2 shown]
.LBB0_19:
	s_add_u32 s0, s22, s24
	s_mul_i32 s2, s37, s2
	s_addc_u32 s1, s23, s25
	s_ashr_i32 s3, s2, 31
	s_add_u32 s0, s0, s2
	s_addc_u32 s1, s1, s3
	v_mov_b32_e32 v0, s1
	v_add_co_u32_e32 v1, vcc, s0, v10
	v_addc_co_u32_e32 v0, vcc, v0, v11, vcc
	v_add_co_u32_e32 v1, vcc, v1, v12
	v_addc_co_u32_e32 v2, vcc, v0, v13, vcc
	v_add_co_u32_e32 v0, vcc, v1, v14
	v_addc_co_u32_e32 v1, vcc, 0, v2, vcc
	global_store_dword v[0:1], v30, off
	global_store_dword v[0:1], v33, off offset:128
	global_store_dword v[0:1], v32, off offset:256
	;; [unrolled: 1-line block ×3, first 2 shown]
	s_endpgm
.LBB0_20:
                                        ; implicit-def: $sgpr8_sgpr9
	s_load_dwordx4 s[4:7], s[4:5], 0x60
	s_branch .LBB0_7
	.section	.rodata,"a",@progbits
	.p2align	6, 0x0
	.amdhsa_kernel _Z18ssm_scan_f32_groupILi4ELi128EEvPKfS1_S1_S1_S1_S1_PKiPfiiiiiiiiiiilllll
		.amdhsa_group_segment_fixed_size 0
		.amdhsa_private_segment_fixed_size 0
		.amdhsa_kernarg_size 152
		.amdhsa_user_sgpr_count 6
		.amdhsa_user_sgpr_private_segment_buffer 1
		.amdhsa_user_sgpr_dispatch_ptr 0
		.amdhsa_user_sgpr_queue_ptr 0
		.amdhsa_user_sgpr_kernarg_segment_ptr 1
		.amdhsa_user_sgpr_dispatch_id 0
		.amdhsa_user_sgpr_flat_scratch_init 0
		.amdhsa_user_sgpr_private_segment_size 0
		.amdhsa_uses_dynamic_stack 0
		.amdhsa_system_sgpr_private_segment_wavefront_offset 0
		.amdhsa_system_sgpr_workgroup_id_x 1
		.amdhsa_system_sgpr_workgroup_id_y 1
		.amdhsa_system_sgpr_workgroup_id_z 0
		.amdhsa_system_sgpr_workgroup_info 0
		.amdhsa_system_vgpr_workitem_id 0
		.amdhsa_next_free_vgpr 44
		.amdhsa_next_free_sgpr 53
		.amdhsa_reserve_vcc 1
		.amdhsa_reserve_flat_scratch 0
		.amdhsa_float_round_mode_32 0
		.amdhsa_float_round_mode_16_64 0
		.amdhsa_float_denorm_mode_32 3
		.amdhsa_float_denorm_mode_16_64 3
		.amdhsa_dx10_clamp 1
		.amdhsa_ieee_mode 1
		.amdhsa_fp16_overflow 0
		.amdhsa_exception_fp_ieee_invalid_op 0
		.amdhsa_exception_fp_denorm_src 0
		.amdhsa_exception_fp_ieee_div_zero 0
		.amdhsa_exception_fp_ieee_overflow 0
		.amdhsa_exception_fp_ieee_underflow 0
		.amdhsa_exception_fp_ieee_inexact 0
		.amdhsa_exception_int_div_zero 0
	.end_amdhsa_kernel
	.section	.text._Z18ssm_scan_f32_groupILi4ELi128EEvPKfS1_S1_S1_S1_S1_PKiPfiiiiiiiiiiilllll,"axG",@progbits,_Z18ssm_scan_f32_groupILi4ELi128EEvPKfS1_S1_S1_S1_S1_PKiPfiiiiiiiiiiilllll,comdat
.Lfunc_end0:
	.size	_Z18ssm_scan_f32_groupILi4ELi128EEvPKfS1_S1_S1_S1_S1_PKiPfiiiiiiiiiiilllll, .Lfunc_end0-_Z18ssm_scan_f32_groupILi4ELi128EEvPKfS1_S1_S1_S1_S1_PKiPfiiiiiiiiiiilllll
                                        ; -- End function
	.set _Z18ssm_scan_f32_groupILi4ELi128EEvPKfS1_S1_S1_S1_S1_PKiPfiiiiiiiiiiilllll.num_vgpr, 44
	.set _Z18ssm_scan_f32_groupILi4ELi128EEvPKfS1_S1_S1_S1_S1_PKiPfiiiiiiiiiiilllll.num_agpr, 0
	.set _Z18ssm_scan_f32_groupILi4ELi128EEvPKfS1_S1_S1_S1_S1_PKiPfiiiiiiiiiiilllll.numbered_sgpr, 53
	.set _Z18ssm_scan_f32_groupILi4ELi128EEvPKfS1_S1_S1_S1_S1_PKiPfiiiiiiiiiiilllll.num_named_barrier, 0
	.set _Z18ssm_scan_f32_groupILi4ELi128EEvPKfS1_S1_S1_S1_S1_PKiPfiiiiiiiiiiilllll.private_seg_size, 0
	.set _Z18ssm_scan_f32_groupILi4ELi128EEvPKfS1_S1_S1_S1_S1_PKiPfiiiiiiiiiiilllll.uses_vcc, 1
	.set _Z18ssm_scan_f32_groupILi4ELi128EEvPKfS1_S1_S1_S1_S1_PKiPfiiiiiiiiiiilllll.uses_flat_scratch, 0
	.set _Z18ssm_scan_f32_groupILi4ELi128EEvPKfS1_S1_S1_S1_S1_PKiPfiiiiiiiiiiilllll.has_dyn_sized_stack, 0
	.set _Z18ssm_scan_f32_groupILi4ELi128EEvPKfS1_S1_S1_S1_S1_PKiPfiiiiiiiiiiilllll.has_recursion, 0
	.set _Z18ssm_scan_f32_groupILi4ELi128EEvPKfS1_S1_S1_S1_S1_PKiPfiiiiiiiiiiilllll.has_indirect_call, 0
	.section	.AMDGPU.csdata,"",@progbits
; Kernel info:
; codeLenInByte = 4132
; TotalNumSgprs: 57
; NumVgprs: 44
; ScratchSize: 0
; MemoryBound: 0
; FloatMode: 240
; IeeeMode: 1
; LDSByteSize: 0 bytes/workgroup (compile time only)
; SGPRBlocks: 7
; VGPRBlocks: 10
; NumSGPRsForWavesPerEU: 57
; NumVGPRsForWavesPerEU: 44
; Occupancy: 5
; WaveLimiterHint : 1
; COMPUTE_PGM_RSRC2:SCRATCH_EN: 0
; COMPUTE_PGM_RSRC2:USER_SGPR: 6
; COMPUTE_PGM_RSRC2:TRAP_HANDLER: 0
; COMPUTE_PGM_RSRC2:TGID_X_EN: 1
; COMPUTE_PGM_RSRC2:TGID_Y_EN: 1
; COMPUTE_PGM_RSRC2:TGID_Z_EN: 0
; COMPUTE_PGM_RSRC2:TIDIG_COMP_CNT: 0
	.section	.text._Z18ssm_scan_f32_groupILi8ELi256EEvPKfS1_S1_S1_S1_S1_PKiPfiiiiiiiiiiilllll,"axG",@progbits,_Z18ssm_scan_f32_groupILi8ELi256EEvPKfS1_S1_S1_S1_S1_PKiPfiiiiiiiiiiilllll,comdat
	.protected	_Z18ssm_scan_f32_groupILi8ELi256EEvPKfS1_S1_S1_S1_S1_PKiPfiiiiiiiiiiilllll ; -- Begin function _Z18ssm_scan_f32_groupILi8ELi256EEvPKfS1_S1_S1_S1_S1_PKiPfiiiiiiiiiiilllll
	.globl	_Z18ssm_scan_f32_groupILi8ELi256EEvPKfS1_S1_S1_S1_S1_PKiPfiiiiiiiiiiilllll
	.p2align	8
	.type	_Z18ssm_scan_f32_groupILi8ELi256EEvPKfS1_S1_S1_S1_S1_PKiPfiiiiiiiiiiilllll,@function
_Z18ssm_scan_f32_groupILi8ELi256EEvPKfS1_S1_S1_S1_S1_PKiPfiiiiiiiiiiilllll: ; @_Z18ssm_scan_f32_groupILi8ELi256EEvPKfS1_S1_S1_S1_S1_PKiPfiiiiiiiiiiilllll
; %bb.0:
	s_load_dwordx8 s[24:31], s[4:5], 0x70
	s_load_dwordx2 s[34:35], s[4:5], 0x90
	v_lshrrev_b32_e32 v1, 5, v0
	v_lshl_or_b32 v1, s6, 3, v1
	v_ashrrev_i32_e32 v2, 31, v1
	s_waitcnt lgkmcnt(0)
	v_or_b32_e32 v4, s29, v2
	v_mov_b32_e32 v3, 0
	v_cmp_ne_u64_e32 vcc, 0, v[3:4]
	s_mov_b32 s2, s7
                                        ; implicit-def: $vgpr3_vgpr4
	s_and_saveexec_b64 s[0:1], vcc
	s_xor_b64 s[6:7], exec, s[0:1]
	s_cbranch_execz .LBB1_2
; %bb.1:
	s_ashr_i32 s8, s29, 31
	s_add_u32 s0, s28, s8
	s_mov_b32 s9, s8
	s_addc_u32 s1, s29, s8
	s_xor_b64 s[10:11], s[0:1], s[8:9]
	v_cvt_f32_u32_e32 v3, s10
	v_cvt_f32_u32_e32 v4, s11
	s_sub_u32 s3, 0, s10
	s_subb_u32 s9, 0, s11
	v_ashrrev_i32_e32 v7, 31, v2
	v_madmk_f32 v3, v4, 0x4f800000, v3
	v_rcp_f32_e32 v3, v3
	v_mul_f32_e32 v3, 0x5f7ffffc, v3
	v_mul_f32_e32 v4, 0x2f800000, v3
	v_trunc_f32_e32 v4, v4
	v_madmk_f32 v3, v4, 0xcf800000, v3
	v_cvt_u32_f32_e32 v4, v4
	v_cvt_u32_f32_e32 v3, v3
	v_readfirstlane_b32 s12, v4
	v_readfirstlane_b32 s0, v3
	s_mul_i32 s1, s3, s12
	s_mul_hi_u32 s14, s3, s0
	s_mul_i32 s13, s9, s0
	s_add_i32 s1, s14, s1
	s_add_i32 s1, s1, s13
	s_mul_i32 s15, s3, s0
	s_mul_i32 s14, s0, s1
	s_mul_hi_u32 s16, s0, s15
	s_mul_hi_u32 s13, s0, s1
	s_add_u32 s14, s16, s14
	s_addc_u32 s13, 0, s13
	s_mul_hi_u32 s17, s12, s15
	s_mul_i32 s15, s12, s15
	s_add_u32 s14, s14, s15
	s_mul_hi_u32 s16, s12, s1
	s_addc_u32 s13, s13, s17
	s_addc_u32 s14, s16, 0
	s_mul_i32 s1, s12, s1
	s_add_u32 s1, s13, s1
	s_addc_u32 s13, 0, s14
	s_add_u32 s14, s0, s1
	s_cselect_b64 s[0:1], -1, 0
	s_cmp_lg_u64 s[0:1], 0
	s_addc_u32 s12, s12, s13
	s_mul_i32 s0, s3, s12
	s_mul_hi_u32 s1, s3, s14
	s_add_i32 s0, s1, s0
	s_mul_i32 s9, s9, s14
	s_add_i32 s0, s0, s9
	s_mul_i32 s3, s3, s14
	s_mul_hi_u32 s9, s12, s3
	s_mul_i32 s13, s12, s3
	s_mul_i32 s16, s14, s0
	s_mul_hi_u32 s3, s14, s3
	s_mul_hi_u32 s15, s14, s0
	s_add_u32 s3, s3, s16
	s_addc_u32 s15, 0, s15
	s_add_u32 s3, s3, s13
	s_mul_hi_u32 s1, s12, s0
	s_addc_u32 s3, s15, s9
	s_addc_u32 s1, s1, 0
	s_mul_i32 s0, s12, s0
	s_add_u32 s0, s3, s0
	s_addc_u32 s3, 0, s1
	s_add_u32 s9, s14, s0
	s_cselect_b64 s[0:1], -1, 0
	s_cmp_lg_u64 s[0:1], 0
	v_add_co_u32_e32 v3, vcc, v1, v7
	s_addc_u32 s3, s12, s3
	v_xor_b32_e32 v8, v3, v7
	v_mad_u64_u32 v[3:4], s[0:1], v8, s3, 0
	v_mul_hi_u32 v6, v8, s9
	v_addc_co_u32_e32 v5, vcc, v2, v7, vcc
	v_xor_b32_e32 v9, v5, v7
	v_add_co_u32_e32 v10, vcc, v6, v3
	v_addc_co_u32_e32 v11, vcc, 0, v4, vcc
	v_mad_u64_u32 v[3:4], s[0:1], v9, s9, 0
	v_mad_u64_u32 v[5:6], s[0:1], v9, s3, 0
	v_add_co_u32_e32 v3, vcc, v10, v3
	v_addc_co_u32_e32 v3, vcc, v11, v4, vcc
	v_addc_co_u32_e32 v4, vcc, 0, v6, vcc
	v_add_co_u32_e32 v5, vcc, v3, v5
	v_addc_co_u32_e32 v3, vcc, 0, v4, vcc
	v_mul_lo_u32 v6, s11, v5
	v_mul_lo_u32 v10, s10, v3
	v_mad_u64_u32 v[3:4], s[0:1], s10, v5, 0
	v_add3_u32 v4, v4, v10, v6
	v_sub_u32_e32 v6, v9, v4
	v_mov_b32_e32 v10, s11
	v_sub_co_u32_e32 v3, vcc, v8, v3
	v_subb_co_u32_e64 v6, s[0:1], v6, v10, vcc
	v_subrev_co_u32_e64 v8, s[0:1], s10, v3
	v_subbrev_co_u32_e64 v6, s[0:1], 0, v6, s[0:1]
	v_cmp_le_u32_e64 s[0:1], s11, v6
	v_subb_co_u32_e32 v4, vcc, v9, v4, vcc
	v_cndmask_b32_e64 v10, 0, -1, s[0:1]
	v_cmp_le_u32_e64 s[0:1], s10, v8
	v_cmp_le_u32_e32 vcc, s11, v4
	v_cndmask_b32_e64 v8, 0, -1, s[0:1]
	v_cmp_eq_u32_e64 s[0:1], s11, v6
	v_cndmask_b32_e64 v9, 0, -1, vcc
	v_cmp_le_u32_e32 vcc, s10, v3
	v_cndmask_b32_e64 v6, v10, v8, s[0:1]
	v_cndmask_b32_e64 v3, 0, -1, vcc
	v_cmp_eq_u32_e32 vcc, s11, v4
	v_add_co_u32_e64 v8, s[0:1], 2, v5
	v_add_co_u32_e64 v10, s[0:1], 1, v5
	v_cndmask_b32_e32 v3, v9, v3, vcc
	v_cmp_ne_u32_e32 vcc, 0, v6
	v_cndmask_b32_e32 v4, v10, v8, vcc
	v_cmp_ne_u32_e32 vcc, 0, v3
	v_cndmask_b32_e32 v3, v5, v4, vcc
	v_xor_b32_e32 v4, s8, v7
	v_xor_b32_e32 v3, v3, v4
	v_sub_co_u32_e32 v3, vcc, v3, v4
.LBB1_2:
	s_andn2_saveexec_b64 s[0:1], s[6:7]
	s_cbranch_execz .LBB1_4
; %bb.3:
	v_cvt_f32_u32_e32 v3, s28
	s_sub_i32 s3, 0, s28
	v_rcp_iflag_f32_e32 v3, v3
	v_mul_f32_e32 v3, 0x4f7ffffe, v3
	v_cvt_u32_f32_e32 v3, v3
	v_mul_lo_u32 v4, s3, v3
	v_mul_hi_u32 v4, v3, v4
	v_add_u32_e32 v3, v3, v4
	v_mul_hi_u32 v3, v1, v3
	v_mul_lo_u32 v4, v3, s28
	v_add_u32_e32 v5, 1, v3
	v_sub_u32_e32 v4, v1, v4
	v_subrev_u32_e32 v6, s28, v4
	v_cmp_le_u32_e32 vcc, s28, v4
	v_cndmask_b32_e32 v4, v4, v6, vcc
	v_cndmask_b32_e32 v3, v3, v5, vcc
	v_add_u32_e32 v5, 1, v3
	v_cmp_le_u32_e32 vcc, s28, v4
	v_cndmask_b32_e32 v3, v3, v5, vcc
.LBB1_4:
	s_or_b64 exec, exec, s[0:1]
	s_load_dwordx16 s[8:23], s[4:5], 0x0
	s_load_dwordx8 s[36:43], s[4:5], 0x40
	s_ashr_i32 s3, s2, 31
	s_lshl_b64 s[0:1], s[2:3], 2
	v_mul_lo_u32 v4, v3, s28
	s_waitcnt lgkmcnt(0)
	s_add_u32 s0, s20, s0
	s_addc_u32 s1, s21, s1
	s_load_dword s0, s[0:1], 0x0
	v_mul_lo_u32 v10, s36, v3
	v_and_b32_e32 v23, 31, v0
	v_sub_u32_e32 v0, v1, v4
	v_lshlrev_b32_e32 v12, 10, v0
	s_waitcnt lgkmcnt(0)
	s_mul_i32 s0, s0, s37
	s_ashr_i32 s1, s0, 31
	s_add_u32 s0, s8, s0
	s_addc_u32 s1, s9, s1
	v_ashrrev_i32_e32 v11, 31, v10
	v_mov_b32_e32 v4, s1
	v_add_co_u32_e32 v5, vcc, s0, v10
	v_addc_co_u32_e32 v4, vcc, v4, v11, vcc
	v_ashrrev_i32_e32 v13, 31, v12
	v_add_co_u32_e32 v0, vcc, v5, v12
	v_addc_co_u32_e32 v5, vcc, v4, v13, vcc
	v_lshlrev_b32_e32 v14, 2, v23
	v_add_co_u32_e32 v4, vcc, v0, v14
	v_addc_co_u32_e32 v5, vcc, 0, v5, vcc
	global_load_dword v15, v[4:5], off
	global_load_dword v16, v[4:5], off offset:128
	global_load_dword v17, v[4:5], off offset:256
	;; [unrolled: 1-line block ×7, first 2 shown]
	v_cmp_lt_i64_e64 s[0:1], s[34:35], 1
	s_and_b64 vcc, exec, s[0:1]
	s_cbranch_vccnz .LBB1_18
; %bb.5:
	s_or_b64 s[0:1], s[26:27], s[30:31]
	s_mov_b32 s0, 0
	s_cmp_lg_u64 s[0:1], 0
	s_cbranch_scc0 .LBB1_20
; %bb.6:
	s_ashr_i32 s6, s31, 31
	s_add_u32 s0, s30, s6
	s_mov_b32 s7, s6
	s_addc_u32 s1, s31, s6
	s_xor_b64 s[8:9], s[0:1], s[6:7]
	v_cvt_f32_u32_e32 v0, s8
	v_cvt_f32_u32_e32 v4, s9
	s_sub_u32 s31, 0, s8
	s_subb_u32 s33, 0, s9
	v_madmk_f32 v0, v4, 0x4f800000, v0
	v_rcp_f32_e32 v0, v0
	v_mul_f32_e32 v0, 0x5f7ffffc, v0
	v_mul_f32_e32 v4, 0x2f800000, v0
	v_trunc_f32_e32 v4, v4
	v_madmk_f32 v0, v4, 0xcf800000, v0
	v_cvt_u32_f32_e32 v4, v4
	v_cvt_u32_f32_e32 v0, v0
	v_readfirstlane_b32 s36, v4
	v_readfirstlane_b32 s20, v0
	s_mul_i32 s21, s31, s36
	s_mul_hi_u32 s45, s31, s20
	s_mul_i32 s44, s33, s20
	s_add_i32 s21, s45, s21
	s_add_i32 s21, s21, s44
	s_mul_i32 s46, s31, s20
	s_mul_i32 s45, s20, s21
	s_mul_hi_u32 s47, s20, s46
	s_mul_hi_u32 s44, s20, s21
	s_add_u32 s45, s47, s45
	s_addc_u32 s44, 0, s44
	s_mul_hi_u32 s48, s36, s46
	s_mul_i32 s46, s36, s46
	s_add_u32 s45, s45, s46
	s_mul_hi_u32 s47, s36, s21
	s_addc_u32 s44, s44, s48
	s_addc_u32 s45, s47, 0
	s_mul_i32 s21, s36, s21
	s_add_u32 s21, s44, s21
	s_addc_u32 s44, 0, s45
	s_add_u32 s45, s20, s21
	s_cselect_b64 s[20:21], -1, 0
	s_cmp_lg_u64 s[20:21], 0
	s_addc_u32 s36, s36, s44
	s_mul_i32 s20, s31, s36
	s_mul_hi_u32 s21, s31, s45
	s_add_i32 s20, s21, s20
	s_mul_i32 s33, s33, s45
	s_add_i32 s20, s20, s33
	s_mul_i32 s31, s31, s45
	s_mul_hi_u32 s33, s36, s31
	s_mul_i32 s44, s36, s31
	s_mul_i32 s47, s45, s20
	s_mul_hi_u32 s31, s45, s31
	s_mul_hi_u32 s46, s45, s20
	s_add_u32 s31, s31, s47
	s_addc_u32 s46, 0, s46
	s_add_u32 s31, s31, s44
	s_mul_hi_u32 s21, s36, s20
	s_addc_u32 s31, s46, s33
	s_addc_u32 s21, s21, 0
	s_mul_i32 s20, s36, s20
	s_add_u32 s20, s31, s20
	s_addc_u32 s31, 0, s21
	s_add_u32 s33, s45, s20
	s_cselect_b64 s[20:21], -1, 0
	s_cmp_lg_u64 s[20:21], 0
	s_addc_u32 s31, s36, s31
	s_ashr_i32 s20, s27, 31
	s_add_u32 s44, s26, s20
	s_mov_b32 s21, s20
	s_addc_u32 s45, s27, s20
	s_xor_b64 s[44:45], s[44:45], s[20:21]
	s_mul_i32 s46, s44, s31
	s_mul_hi_u32 s47, s44, s33
	s_mul_hi_u32 s36, s44, s31
	s_add_u32 s46, s47, s46
	s_addc_u32 s36, 0, s36
	s_mul_hi_u32 s48, s45, s33
	s_mul_i32 s33, s45, s33
	s_add_u32 s33, s46, s33
	s_mul_hi_u32 s47, s45, s31
	s_addc_u32 s33, s36, s48
	s_addc_u32 s36, s47, 0
	s_mul_i32 s31, s45, s31
	s_add_u32 s31, s33, s31
	s_addc_u32 s33, 0, s36
	s_mul_i32 s36, s8, s33
	s_mul_hi_u32 s46, s8, s31
	s_add_i32 s36, s46, s36
	s_mul_i32 s46, s9, s31
	s_add_i32 s36, s36, s46
	s_sub_i32 s48, s45, s36
	s_mul_i32 s46, s8, s31
	s_sub_u32 s44, s44, s46
	s_cselect_b64 s[46:47], -1, 0
	s_cmp_lg_u64 s[46:47], 0
	s_subb_u32 s50, s48, s9
	s_sub_u32 s51, s44, s8
	s_cselect_b64 s[48:49], -1, 0
	s_cmp_lg_u64 s[48:49], 0
	s_subb_u32 s48, s50, 0
	s_cmp_ge_u32 s48, s9
	s_cselect_b32 s49, -1, 0
	s_cmp_ge_u32 s51, s8
	s_cselect_b32 s50, -1, 0
	s_cmp_eq_u32 s48, s9
	s_cselect_b32 s48, s50, s49
	s_add_u32 s49, s31, 1
	s_addc_u32 s50, s33, 0
	s_add_u32 s51, s31, 2
	s_addc_u32 s52, s33, 0
	s_cmp_lg_u32 s48, 0
	s_cselect_b32 s48, s51, s49
	s_cselect_b32 s49, s52, s50
	s_cmp_lg_u64 s[46:47], 0
	s_subb_u32 s36, s45, s36
	s_cmp_ge_u32 s36, s9
	s_cselect_b32 s45, -1, 0
	s_cmp_ge_u32 s44, s8
	s_cselect_b32 s8, -1, 0
	s_cmp_eq_u32 s36, s9
	s_cselect_b32 s8, s8, s45
	s_cmp_lg_u32 s8, 0
	s_cselect_b32 s9, s49, s33
	s_cselect_b32 s8, s48, s31
	s_xor_b64 s[6:7], s[20:21], s[6:7]
	s_xor_b64 s[8:9], s[8:9], s[6:7]
	s_sub_u32 s8, s8, s6
	s_subb_u32 s9, s9, s7
	s_load_dwordx4 s[4:7], s[4:5], 0x60
	s_cbranch_execnz .LBB1_8
.LBB1_7:
	v_cvt_f32_u32_e32 v0, s30
	s_sub_i32 s0, 0, s30
	s_mov_b32 s9, 0
	v_rcp_iflag_f32_e32 v0, v0
	v_mul_f32_e32 v0, 0x4f7ffffe, v0
	v_cvt_u32_f32_e32 v0, v0
	v_readfirstlane_b32 s1, v0
	s_mul_i32 s0, s0, s1
	s_mul_hi_u32 s0, s1, s0
	s_add_i32 s1, s1, s0
	s_mul_hi_u32 s0, s26, s1
	s_waitcnt lgkmcnt(0)
	s_mul_i32 s7, s0, s30
	s_sub_i32 s7, s26, s7
	s_add_i32 s1, s0, 1
	s_sub_i32 s8, s7, s30
	s_cmp_ge_u32 s7, s30
	s_cselect_b32 s0, s1, s0
	s_cselect_b32 s7, s8, s7
	s_add_i32 s1, s0, 1
	s_cmp_ge_u32 s7, s30
	s_cselect_b32 s8, s1, s0
.LBB1_8:
	v_ashrrev_i32_e32 v0, 31, v3
	v_mov_b32_e32 v4, 0
	v_or_b32_e32 v5, s9, v0
	v_cmp_ne_u64_e32 vcc, 0, v[4:5]
                                        ; implicit-def: $vgpr8_vgpr9
	s_and_saveexec_b64 s[0:1], vcc
	s_xor_b64 s[20:21], exec, s[0:1]
	s_cbranch_execz .LBB1_10
; %bb.9:
	s_ashr_i32 s30, s9, 31
	s_add_u32 s0, s8, s30
	s_mov_b32 s31, s30
	s_addc_u32 s1, s9, s30
	s_xor_b64 s[44:45], s[0:1], s[30:31]
	v_cvt_f32_u32_e32 v5, s44
	v_cvt_f32_u32_e32 v6, s45
	s_waitcnt lgkmcnt(0)
	s_sub_u32 s7, 0, s44
	s_subb_u32 s9, 0, s45
	v_ashrrev_i32_e32 v9, 31, v0
	v_madmk_f32 v5, v6, 0x4f800000, v5
	v_rcp_f32_e32 v5, v5
	v_mul_f32_e32 v5, 0x5f7ffffc, v5
	v_mul_f32_e32 v6, 0x2f800000, v5
	v_trunc_f32_e32 v6, v6
	v_madmk_f32 v5, v6, 0xcf800000, v5
	v_cvt_u32_f32_e32 v6, v6
	v_cvt_u32_f32_e32 v5, v5
	v_readfirstlane_b32 s31, v6
	v_readfirstlane_b32 s0, v5
	s_mul_i32 s1, s7, s31
	s_mul_hi_u32 s36, s7, s0
	s_mul_i32 s33, s9, s0
	s_add_i32 s1, s36, s1
	s_add_i32 s1, s1, s33
	s_mul_i32 s46, s7, s0
	s_mul_i32 s36, s0, s1
	s_mul_hi_u32 s47, s0, s46
	s_mul_hi_u32 s33, s0, s1
	s_add_u32 s36, s47, s36
	s_addc_u32 s33, 0, s33
	s_mul_hi_u32 s48, s31, s46
	s_mul_i32 s46, s31, s46
	s_add_u32 s36, s36, s46
	s_mul_hi_u32 s47, s31, s1
	s_addc_u32 s33, s33, s48
	s_addc_u32 s36, s47, 0
	s_mul_i32 s1, s31, s1
	s_add_u32 s1, s33, s1
	s_addc_u32 s33, 0, s36
	s_add_u32 s36, s0, s1
	s_cselect_b64 s[0:1], -1, 0
	s_cmp_lg_u64 s[0:1], 0
	s_addc_u32 s31, s31, s33
	s_mul_i32 s0, s7, s31
	s_mul_hi_u32 s1, s7, s36
	s_add_i32 s0, s1, s0
	s_mul_i32 s9, s9, s36
	s_add_i32 s0, s0, s9
	s_mul_i32 s7, s7, s36
	s_mul_hi_u32 s9, s31, s7
	s_mul_i32 s33, s31, s7
	s_mul_i32 s47, s36, s0
	s_mul_hi_u32 s7, s36, s7
	s_mul_hi_u32 s46, s36, s0
	s_add_u32 s7, s7, s47
	s_addc_u32 s46, 0, s46
	s_add_u32 s7, s7, s33
	s_mul_hi_u32 s1, s31, s0
	s_addc_u32 s7, s46, s9
	s_addc_u32 s1, s1, 0
	s_mul_i32 s0, s31, s0
	s_add_u32 s0, s7, s0
	s_addc_u32 s7, 0, s1
	s_add_u32 s9, s36, s0
	s_cselect_b64 s[0:1], -1, 0
	s_cmp_lg_u64 s[0:1], 0
	v_add_co_u32_e32 v5, vcc, v3, v9
	s_addc_u32 s7, s31, s7
	v_xor_b32_e32 v24, v5, v9
	v_mad_u64_u32 v[5:6], s[0:1], v24, s7, 0
	v_mul_hi_u32 v7, v24, s9
	v_addc_co_u32_e32 v0, vcc, v0, v9, vcc
	v_xor_b32_e32 v0, v0, v9
	v_add_co_u32_e32 v25, vcc, v7, v5
	v_addc_co_u32_e32 v26, vcc, 0, v6, vcc
	v_mad_u64_u32 v[5:6], s[0:1], v0, s9, 0
	v_mad_u64_u32 v[7:8], s[0:1], v0, s7, 0
	v_add_co_u32_e32 v5, vcc, v25, v5
	v_addc_co_u32_e32 v5, vcc, v26, v6, vcc
	v_addc_co_u32_e32 v6, vcc, 0, v8, vcc
	v_add_co_u32_e32 v7, vcc, v5, v7
	v_addc_co_u32_e32 v5, vcc, 0, v6, vcc
	v_mul_lo_u32 v8, s45, v7
	v_mul_lo_u32 v25, s44, v5
	v_mad_u64_u32 v[5:6], s[0:1], s44, v7, 0
	v_add3_u32 v6, v6, v25, v8
	v_sub_u32_e32 v8, v0, v6
	v_mov_b32_e32 v25, s45
	v_sub_co_u32_e32 v5, vcc, v24, v5
	v_subb_co_u32_e64 v8, s[0:1], v8, v25, vcc
	v_subrev_co_u32_e64 v24, s[0:1], s44, v5
	v_subbrev_co_u32_e64 v8, s[0:1], 0, v8, s[0:1]
	v_cmp_le_u32_e64 s[0:1], s45, v8
	v_subb_co_u32_e32 v0, vcc, v0, v6, vcc
	v_cndmask_b32_e64 v25, 0, -1, s[0:1]
	v_cmp_le_u32_e64 s[0:1], s44, v24
	v_cmp_le_u32_e32 vcc, s45, v0
	v_cndmask_b32_e64 v24, 0, -1, s[0:1]
	v_cmp_eq_u32_e64 s[0:1], s45, v8
	v_cndmask_b32_e64 v6, 0, -1, vcc
	v_cmp_le_u32_e32 vcc, s44, v5
	v_cndmask_b32_e64 v8, v25, v24, s[0:1]
	v_cndmask_b32_e64 v5, 0, -1, vcc
	v_cmp_eq_u32_e32 vcc, s45, v0
	v_add_co_u32_e64 v24, s[0:1], 2, v7
	v_add_co_u32_e64 v25, s[0:1], 1, v7
	v_cndmask_b32_e32 v0, v6, v5, vcc
	v_cmp_ne_u32_e32 vcc, 0, v8
	v_cndmask_b32_e32 v5, v25, v24, vcc
	v_cmp_ne_u32_e32 vcc, 0, v0
	v_cndmask_b32_e32 v0, v7, v5, vcc
	v_xor_b32_e32 v5, s30, v9
	v_xor_b32_e32 v0, v0, v5
	v_sub_co_u32_e32 v8, vcc, v0, v5
.LBB1_10:
	s_or_saveexec_b64 s[0:1], s[20:21]
	v_mov_b32_e32 v5, v3
	s_xor_b64 exec, exec, s[0:1]
	s_cbranch_execz .LBB1_12
; %bb.11:
	v_cvt_f32_u32_e32 v0, s8
	s_waitcnt lgkmcnt(0)
	s_sub_i32 s7, 0, s8
	v_rcp_iflag_f32_e32 v0, v0
	v_mul_f32_e32 v0, 0x4f7ffffe, v0
	v_cvt_u32_f32_e32 v0, v0
	v_mul_lo_u32 v6, s7, v0
	v_mul_hi_u32 v6, v0, v6
	v_add_u32_e32 v0, v0, v6
	v_mul_hi_u32 v0, v5, v0
	v_mul_lo_u32 v6, v0, s8
	v_add_u32_e32 v7, 1, v0
	v_sub_u32_e32 v6, v5, v6
	v_subrev_u32_e32 v8, s8, v6
	v_cmp_le_u32_e32 vcc, s8, v6
	v_cndmask_b32_e32 v6, v6, v8, vcc
	v_cndmask_b32_e32 v0, v0, v7, vcc
	v_add_u32_e32 v7, 1, v0
	v_cmp_le_u32_e32 vcc, s8, v6
	v_cndmask_b32_e32 v8, v0, v7, vcc
.LBB1_12:
	s_or_b64 exec, exec, s[0:1]
	s_waitcnt lgkmcnt(0)
	s_mul_i32 s30, s6, s2
	s_mul_i32 s6, s28, s27
	s_mul_hi_u32 s8, s28, s26
	s_add_i32 s6, s8, s6
	s_mul_i32 s8, s29, s26
	s_add_i32 s8, s6, s8
	s_mul_i32 s6, s28, s26
	s_mul_i32 s3, s6, s3
	s_mul_hi_u32 s9, s6, s2
	s_add_i32 s3, s9, s3
	s_mul_i32 s8, s8, s2
	s_add_i32 s3, s3, s8
	s_mul_i32 s8, s6, s2
	s_mul_i32 s9, s8, s35
	s_mul_hi_u32 s26, s8, s34
	s_mul_i32 s3, s3, s34
	s_add_i32 s9, s26, s9
	s_mul_i32 s1, s39, s2
	s_mul_i32 s21, s41, s2
	s_add_i32 s9, s9, s3
	s_mul_i32 s8, s8, s34
	s_ashr_i32 s20, s43, 2
	s_ashr_i32 s0, s38, 2
	;; [unrolled: 1-line block ×5, first 2 shown]
	s_lshl_b64 s[8:9], s[8:9], 2
	s_add_u32 s3, s22, s8
	s_addc_u32 s8, s23, s9
	v_lshlrev_b64 v[6:7], 2, v[1:2]
	s_add_u32 s1, s10, s1
	s_addc_u32 s7, s11, s7
	v_mul_lo_u32 v9, s42, v3
	v_ashrrev_i64 v[2:3], 30, v[4:5]
	v_mov_b32_e32 v1, s7
	v_add_co_u32_e32 v0, vcc, s1, v6
	s_add_u32 s1, s12, s21
	v_addc_co_u32_e32 v1, vcc, v1, v7, vcc
	s_addc_u32 s7, s13, s33
	v_mov_b32_e32 v4, s7
	v_add_co_u32_e32 v2, vcc, s1, v2
	v_addc_co_u32_e32 v3, vcc, v4, v3, vcc
	v_ashrrev_i32_e32 v5, 31, v9
	v_mov_b32_e32 v24, s15
	v_add_co_u32_e32 v4, vcc, s14, v9
	v_addc_co_u32_e32 v5, vcc, v24, v5, vcc
	v_mbcnt_lo_u32_b32 v24, -1, 0
	v_mbcnt_hi_u32_b32 v28, -1, v24
	v_mov_b32_e32 v9, s8
	v_add_co_u32_e32 v6, vcc, s3, v6
	v_and_b32_e32 v24, 0x60, v28
	v_addc_co_u32_e32 v7, vcc, v9, v7, vcc
	v_add_u32_e32 v29, 32, v24
	v_xor_b32_e32 v24, 16, v28
	s_ashr_i32 s8, s40, 2
	v_cmp_lt_i32_e32 vcc, v24, v29
	v_xor_b32_e32 v25, 8, v28
	s_mul_i32 s3, s4, s2
	s_ashr_i32 s12, s5, 2
	s_ashr_i32 s9, s8, 31
	;; [unrolled: 1-line block ×3, first 2 shown]
	v_cndmask_b32_e32 v24, v28, v24, vcc
	v_cmp_lt_i32_e32 vcc, v25, v29
	v_xor_b32_e32 v26, 4, v28
	s_bfe_i64 s[4:5], s[6:7], 0x200000
	s_ashr_i32 s10, s3, 31
	s_ashr_i32 s21, s20, 31
	;; [unrolled: 1-line block ×3, first 2 shown]
	v_cndmask_b32_e32 v25, v28, v25, vcc
	v_cmp_lt_i32_e32 vcc, v26, v29
	v_xor_b32_e32 v27, 2, v28
	s_lshl_b64 s[4:5], s[4:5], 2
	s_lshl_b64 s[6:7], s[8:9], 2
	;; [unrolled: 1-line block ×3, first 2 shown]
	v_cndmask_b32_e32 v26, v28, v26, vcc
	v_cmp_lt_i32_e32 vcc, v27, v29
	v_xor_b32_e32 v30, 1, v28
	s_add_u32 s0, s16, s3
	v_cndmask_b32_e32 v27, v28, v27, vcc
	v_cmp_lt_i32_e32 vcc, v30, v29
	s_addc_u32 s1, s17, s10
	v_cndmask_b32_e32 v28, v28, v30, vcc
	v_cmp_eq_u32_e32 vcc, 0, v23
	v_mov_b32_e32 v29, s1
	v_add_co_u32_e64 v23, s[0:1], s0, v14
	v_addc_co_u32_e64 v29, s[0:1], 0, v29, s[0:1]
	s_lshl_b64 s[10:11], s[20:21], 2
	s_add_u32 s0, s18, s30
	s_addc_u32 s1, s19, s31
	v_lshlrev_b32_e32 v8, 10, v8
	v_mov_b32_e32 v31, s1
	v_add_co_u32_e64 v30, s[0:1], s0, v14
	v_ashrrev_i32_e32 v9, 31, v8
	v_lshlrev_b32_e32 v24, 2, v24
	v_lshlrev_b32_e32 v25, 2, v25
	;; [unrolled: 1-line block ×5, first 2 shown]
	v_addc_co_u32_e64 v31, s[0:1], 0, v31, s[0:1]
	s_lshl_b64 s[12:13], s[12:13], 2
	s_mov_b32 s3, 0x41a00000
	s_mov_b32 s16, 0x3fb8aa3b
	s_mov_b32 s17, 0xc2ce8ed0
	s_mov_b32 s18, 0x42b17218
	s_mov_b32 s19, 0x7f800000
	s_mov_b32 s20, 0x3f2aaaab
	v_mov_b32_e32 v32, 0x3f2aaada
	s_mov_b32 s21, 0x3f317218
	s_mov_b32 s26, 0x33800000
	v_mov_b32_e32 v33, 0x7f800000
	global_load_dword v34, v[2:3], off
	s_waitcnt vmcnt(0)
	v_cmp_ge_f32_e64 s[0:1], s3, v34
	s_and_saveexec_b64 s[14:15], s[0:1]
	s_cbranch_execz .LBB1_14
.LBB1_13:
	v_mul_f32_e32 v35, 0x3fb8aa3b, v34
	v_rndne_f32_e32 v36, v35
	v_sub_f32_e32 v37, v35, v36
	v_fma_f32 v35, v34, s16, -v35
	v_fmac_f32_e32 v35, 0x32a5705f, v34
	v_add_f32_e32 v35, v37, v35
	v_cvt_i32_f32_e32 v36, v36
	v_exp_f32_e32 v35, v35
	v_cmp_ngt_f32_e64 s[0:1], s17, v34
	v_ldexp_f32 v35, v35, v36
	v_cndmask_b32_e64 v35, 0, v35, s[0:1]
	v_cmp_nlt_f32_e64 s[0:1], s18, v34
	v_cndmask_b32_e64 v36, v33, v35, s[0:1]
	v_add_f32_e32 v37, 1.0, v36
	v_cvt_f64_f32_e32 v[34:35], v37
	v_add_f32_e32 v38, -1.0, v37
	v_sub_f32_e32 v39, v38, v37
	v_sub_f32_e32 v38, v36, v38
	v_frexp_exp_i32_f64_e32 v34, v[34:35]
	v_frexp_mant_f32_e32 v35, v37
	v_cmp_gt_f32_e64 s[0:1], s20, v35
	v_add_f32_e32 v39, 1.0, v39
	v_add_f32_e32 v38, v38, v39
	v_subbrev_co_u32_e64 v34, s[0:1], 0, v34, s[0:1]
	v_sub_u32_e32 v35, 0, v34
	v_ldexp_f32 v37, v37, v35
	v_ldexp_f32 v35, v38, v35
	v_add_f32_e32 v38, -1.0, v37
	v_add_f32_e32 v41, 1.0, v37
	v_add_f32_e32 v39, 1.0, v38
	v_add_f32_e32 v42, -1.0, v41
	v_sub_f32_e32 v39, v37, v39
	v_sub_f32_e32 v37, v37, v42
	v_add_f32_e32 v39, v35, v39
	v_add_f32_e32 v35, v35, v37
	;; [unrolled: 1-line block ×3, first 2 shown]
	v_rcp_f32_e32 v42, v37
	v_add_f32_e32 v40, v38, v39
	v_sub_f32_e32 v38, v38, v40
	v_add_f32_e32 v38, v39, v38
	v_sub_f32_e32 v39, v41, v37
	v_add_f32_e32 v35, v35, v39
	v_mul_f32_e32 v39, v40, v42
	v_mul_f32_e32 v41, v37, v39
	v_fma_f32 v43, v39, v37, -v41
	v_fmac_f32_e32 v43, v39, v35
	v_add_f32_e32 v44, v41, v43
	v_sub_f32_e32 v45, v40, v44
	v_sub_f32_e32 v40, v40, v45
	;; [unrolled: 1-line block ×4, first 2 shown]
	v_add_f32_e32 v38, v38, v40
	v_sub_f32_e32 v40, v41, v43
	v_add_f32_e32 v38, v40, v38
	v_add_f32_e32 v40, v45, v38
	v_mul_f32_e32 v41, v42, v40
	v_mul_f32_e32 v43, v37, v41
	v_fma_f32 v37, v41, v37, -v43
	v_fmac_f32_e32 v37, v41, v35
	v_sub_f32_e32 v35, v45, v40
	v_add_f32_e32 v35, v38, v35
	v_add_f32_e32 v38, v43, v37
	v_sub_f32_e32 v44, v40, v38
	v_sub_f32_e32 v40, v40, v44
	;; [unrolled: 1-line block ×4, first 2 shown]
	v_add_f32_e32 v35, v35, v38
	v_sub_f32_e32 v37, v43, v37
	v_cvt_f32_i32_e32 v34, v34
	v_add_f32_e32 v35, v37, v35
	v_add_f32_e32 v37, v39, v41
	;; [unrolled: 1-line block ×3, first 2 shown]
	v_sub_f32_e32 v38, v37, v39
	v_mul_f32_e32 v35, v42, v35
	v_sub_f32_e32 v38, v41, v38
	v_add_f32_e32 v35, v38, v35
	v_mul_f32_e32 v41, 0x3f317218, v34
	v_add_f32_e32 v38, v37, v35
	v_fma_f32 v42, v34, s21, -v41
	v_mul_f32_e32 v39, v38, v38
	v_mov_b32_e32 v40, 0x3ecc95a3
	v_fmac_f32_e32 v42, 0xb102e308, v34
	v_sub_f32_e32 v34, v38, v37
	v_fmac_f32_e32 v40, 0x3e9b6dac, v39
	v_sub_f32_e32 v34, v35, v34
	v_add_f32_e32 v35, v41, v42
	v_fma_f32 v40, v39, v40, v32
	v_sub_f32_e32 v37, v35, v41
	v_ldexp_f32 v41, v38, 1
	v_mul_f32_e32 v38, v38, v39
	v_mul_f32_e32 v38, v38, v40
	v_add_f32_e32 v39, v41, v38
	v_sub_f32_e32 v40, v39, v41
	v_ldexp_f32 v34, v34, 1
	v_sub_f32_e32 v38, v38, v40
	v_add_f32_e32 v34, v34, v38
	v_add_f32_e32 v38, v39, v34
	v_sub_f32_e32 v39, v38, v39
	v_sub_f32_e32 v34, v34, v39
	v_add_f32_e32 v39, v35, v38
	v_sub_f32_e32 v40, v39, v35
	v_sub_f32_e32 v41, v39, v40
	;; [unrolled: 1-line block ×5, first 2 shown]
	v_add_f32_e32 v35, v38, v35
	v_add_f32_e32 v38, v37, v34
	v_sub_f32_e32 v40, v38, v37
	v_sub_f32_e32 v41, v38, v40
	;; [unrolled: 1-line block ×4, first 2 shown]
	v_add_f32_e32 v35, v38, v35
	v_add_f32_e32 v34, v34, v37
	;; [unrolled: 1-line block ×3, first 2 shown]
	v_sub_f32_e32 v38, v37, v39
	v_sub_f32_e32 v35, v35, v38
	v_add_f32_e32 v34, v34, v35
	v_add_f32_e32 v34, v37, v34
	v_cmp_neq_f32_e64 s[0:1], s19, v36
	v_cndmask_b32_e64 v34, v33, v34, s[0:1]
	v_cmp_gt_f32_e64 s[0:1], s26, v36
	v_cndmask_b32_e64 v34, v34, v36, s[0:1]
.LBB1_14:                               ; =>This Inner Loop Header: Depth=1
	s_or_b64 exec, exec, s[14:15]
	global_load_dword v37, v[4:5], off
	global_load_dword v38, v[0:1], off
	v_add_co_u32_e64 v35, s[0:1], v23, v8
	v_addc_co_u32_e64 v36, s[0:1], v29, v9, s[0:1]
	global_load_dword v39, v[35:36], off
	global_load_dword v40, v[35:36], off offset:128
	global_load_dword v42, v[35:36], off offset:256
	;; [unrolled: 1-line block ×7, first 2 shown]
	v_add_co_u32_e64 v35, s[0:1], v30, v8
	v_addc_co_u32_e64 v36, s[0:1], v31, v9, s[0:1]
	global_load_dword v48, v[35:36], off
	global_load_dword v49, v[35:36], off offset:128
	global_load_dword v50, v[35:36], off offset:256
	;; [unrolled: 1-line block ×7, first 2 shown]
	s_waitcnt vmcnt(17)
	v_mul_f32_e32 v56, v34, v37
	s_waitcnt vmcnt(16)
	v_mul_f32_e32 v36, v34, v38
	v_mul_f32_e32 v38, 0x3fb8aa3b, v56
	s_waitcnt vmcnt(15)
	v_mul_f32_e32 v41, v36, v39
	s_waitcnt vmcnt(14)
	;; [unrolled: 2-line block ×3, first 2 shown]
	v_mul_f32_e32 v37, v36, v42
	v_fma_f32 v40, v56, s16, -v38
	v_rndne_f32_e32 v42, v38
	v_fmac_f32_e32 v40, 0x32a5705f, v56
	v_sub_f32_e32 v38, v38, v42
	v_add_f32_e32 v38, v38, v40
	s_waitcnt vmcnt(12)
	v_mul_f32_e32 v35, v36, v43
	v_cvt_i32_f32_e32 v42, v42
	v_exp_f32_e32 v43, v38
	v_cmp_ngt_f32_e64 s[0:1], s17, v56
	s_waitcnt vmcnt(11)
	v_mul_f32_e32 v34, v36, v44
	s_waitcnt vmcnt(10)
	v_mul_f32_e32 v40, v36, v45
	v_ldexp_f32 v42, v43, v42
	v_cndmask_b32_e64 v42, 0, v42, s[0:1]
	v_cmp_nlt_f32_e64 s[0:1], s18, v56
	v_cndmask_b32_e64 v42, v33, v42, s[0:1]
	v_fmac_f32_e32 v41, v42, v15
	v_fmac_f32_e32 v39, v42, v16
	s_waitcnt vmcnt(7)
	v_fma_f32 v15, v48, v41, 0
	v_fmac_f32_e32 v37, v42, v17
	s_waitcnt vmcnt(6)
	v_fmac_f32_e32 v15, v49, v39
	v_fmac_f32_e32 v35, v42, v18
	s_waitcnt vmcnt(5)
	v_fmac_f32_e32 v15, v50, v37
	;; [unrolled: 3-line block ×3, first 2 shown]
	v_mul_f32_e32 v38, v36, v46
	v_fmac_f32_e32 v40, v42, v21
	s_waitcnt vmcnt(3)
	v_fmac_f32_e32 v15, v52, v34
	v_mul_f32_e32 v36, v36, v47
	v_fmac_f32_e32 v38, v42, v22
	s_waitcnt vmcnt(2)
	v_fmac_f32_e32 v15, v53, v40
	s_waitcnt vmcnt(1)
	v_fmac_f32_e32 v15, v54, v38
	v_fmac_f32_e32 v36, v42, v19
	s_waitcnt vmcnt(0)
	v_fmac_f32_e32 v15, v55, v36
	ds_bpermute_b32 v16, v24, v15
	s_waitcnt lgkmcnt(0)
	v_add_f32_e32 v15, v15, v16
	ds_bpermute_b32 v16, v25, v15
	s_waitcnt lgkmcnt(0)
	v_add_f32_e32 v15, v15, v16
	;; [unrolled: 3-line block ×4, first 2 shown]
	ds_bpermute_b32 v16, v28, v15
	s_and_saveexec_b64 s[0:1], vcc
	s_cbranch_execz .LBB1_16
; %bb.15:                               ;   in Loop: Header=BB1_14 Depth=1
	s_waitcnt lgkmcnt(0)
	v_add_f32_e32 v15, v15, v16
	global_store_dword v[6:7], v15, off
.LBB1_16:                               ;   in Loop: Header=BB1_14 Depth=1
	s_or_b64 exec, exec, s[0:1]
	v_mov_b32_e32 v15, s5
	v_add_co_u32_e64 v6, s[0:1], s4, v6
	v_addc_co_u32_e64 v7, s[0:1], v7, v15, s[0:1]
	v_mov_b32_e32 v15, s7
	v_add_co_u32_e64 v2, s[0:1], s6, v2
	v_addc_co_u32_e64 v3, s[0:1], v3, v15, s[0:1]
	;; [unrolled: 3-line block ×3, first 2 shown]
	v_mov_b32_e32 v15, s11
	v_add_co_u32_e64 v23, s[0:1], s10, v23
	s_add_u32 s34, s34, -1
	v_addc_co_u32_e64 v29, s[0:1], v29, v15, s[0:1]
	s_addc_u32 s35, s35, -1
	v_mov_b32_e32 v15, s13
	v_add_co_u32_e64 v30, s[0:1], s12, v30
	s_cmp_eq_u64 s[34:35], 0
	v_addc_co_u32_e64 v31, s[0:1], v31, v15, s[0:1]
	s_cbranch_scc1 .LBB1_19
; %bb.17:                               ;   in Loop: Header=BB1_14 Depth=1
	v_mov_b32_e32 v15, v41
	s_waitcnt lgkmcnt(0)
	v_mov_b32_e32 v16, v39
	v_mov_b32_e32 v17, v37
	;; [unrolled: 1-line block ×7, first 2 shown]
	global_load_dword v34, v[2:3], off
	s_waitcnt vmcnt(0)
	v_cmp_ge_f32_e64 s[0:1], s3, v34
	s_and_saveexec_b64 s[14:15], s[0:1]
	s_cbranch_execnz .LBB1_13
	s_branch .LBB1_14
.LBB1_18:
	s_waitcnt vmcnt(0)
	v_mov_b32_e32 v36, v19
	v_mov_b32_e32 v38, v22
	;; [unrolled: 1-line block ×8, first 2 shown]
.LBB1_19:
	s_add_u32 s0, s22, s24
	s_mul_i32 s2, s37, s2
	s_addc_u32 s1, s23, s25
	s_ashr_i32 s3, s2, 31
	s_add_u32 s0, s0, s2
	s_addc_u32 s1, s1, s3
	v_mov_b32_e32 v0, s1
	v_add_co_u32_e32 v1, vcc, s0, v10
	v_addc_co_u32_e32 v0, vcc, v0, v11, vcc
	v_add_co_u32_e32 v1, vcc, v1, v12
	v_addc_co_u32_e32 v2, vcc, v0, v13, vcc
	;; [unrolled: 2-line block ×3, first 2 shown]
	global_store_dword v[0:1], v41, off
	global_store_dword v[0:1], v39, off offset:128
	global_store_dword v[0:1], v37, off offset:256
	;; [unrolled: 1-line block ×7, first 2 shown]
	s_endpgm
.LBB1_20:
                                        ; implicit-def: $sgpr8_sgpr9
	s_load_dwordx4 s[4:7], s[4:5], 0x60
	s_branch .LBB1_7
	.section	.rodata,"a",@progbits
	.p2align	6, 0x0
	.amdhsa_kernel _Z18ssm_scan_f32_groupILi8ELi256EEvPKfS1_S1_S1_S1_S1_PKiPfiiiiiiiiiiilllll
		.amdhsa_group_segment_fixed_size 0
		.amdhsa_private_segment_fixed_size 0
		.amdhsa_kernarg_size 152
		.amdhsa_user_sgpr_count 6
		.amdhsa_user_sgpr_private_segment_buffer 1
		.amdhsa_user_sgpr_dispatch_ptr 0
		.amdhsa_user_sgpr_queue_ptr 0
		.amdhsa_user_sgpr_kernarg_segment_ptr 1
		.amdhsa_user_sgpr_dispatch_id 0
		.amdhsa_user_sgpr_flat_scratch_init 0
		.amdhsa_user_sgpr_private_segment_size 0
		.amdhsa_uses_dynamic_stack 0
		.amdhsa_system_sgpr_private_segment_wavefront_offset 0
		.amdhsa_system_sgpr_workgroup_id_x 1
		.amdhsa_system_sgpr_workgroup_id_y 1
		.amdhsa_system_sgpr_workgroup_id_z 0
		.amdhsa_system_sgpr_workgroup_info 0
		.amdhsa_system_vgpr_workitem_id 0
		.amdhsa_next_free_vgpr 57
		.amdhsa_next_free_sgpr 53
		.amdhsa_reserve_vcc 1
		.amdhsa_reserve_flat_scratch 0
		.amdhsa_float_round_mode_32 0
		.amdhsa_float_round_mode_16_64 0
		.amdhsa_float_denorm_mode_32 3
		.amdhsa_float_denorm_mode_16_64 3
		.amdhsa_dx10_clamp 1
		.amdhsa_ieee_mode 1
		.amdhsa_fp16_overflow 0
		.amdhsa_exception_fp_ieee_invalid_op 0
		.amdhsa_exception_fp_denorm_src 0
		.amdhsa_exception_fp_ieee_div_zero 0
		.amdhsa_exception_fp_ieee_overflow 0
		.amdhsa_exception_fp_ieee_underflow 0
		.amdhsa_exception_fp_ieee_inexact 0
		.amdhsa_exception_int_div_zero 0
	.end_amdhsa_kernel
	.section	.text._Z18ssm_scan_f32_groupILi8ELi256EEvPKfS1_S1_S1_S1_S1_PKiPfiiiiiiiiiiilllll,"axG",@progbits,_Z18ssm_scan_f32_groupILi8ELi256EEvPKfS1_S1_S1_S1_S1_PKiPfiiiiiiiiiiilllll,comdat
.Lfunc_end1:
	.size	_Z18ssm_scan_f32_groupILi8ELi256EEvPKfS1_S1_S1_S1_S1_PKiPfiiiiiiiiiiilllll, .Lfunc_end1-_Z18ssm_scan_f32_groupILi8ELi256EEvPKfS1_S1_S1_S1_S1_PKiPfiiiiiiiiiiilllll
                                        ; -- End function
	.set _Z18ssm_scan_f32_groupILi8ELi256EEvPKfS1_S1_S1_S1_S1_PKiPfiiiiiiiiiiilllll.num_vgpr, 57
	.set _Z18ssm_scan_f32_groupILi8ELi256EEvPKfS1_S1_S1_S1_S1_PKiPfiiiiiiiiiiilllll.num_agpr, 0
	.set _Z18ssm_scan_f32_groupILi8ELi256EEvPKfS1_S1_S1_S1_S1_PKiPfiiiiiiiiiiilllll.numbered_sgpr, 53
	.set _Z18ssm_scan_f32_groupILi8ELi256EEvPKfS1_S1_S1_S1_S1_PKiPfiiiiiiiiiiilllll.num_named_barrier, 0
	.set _Z18ssm_scan_f32_groupILi8ELi256EEvPKfS1_S1_S1_S1_S1_PKiPfiiiiiiiiiiilllll.private_seg_size, 0
	.set _Z18ssm_scan_f32_groupILi8ELi256EEvPKfS1_S1_S1_S1_S1_PKiPfiiiiiiiiiiilllll.uses_vcc, 1
	.set _Z18ssm_scan_f32_groupILi8ELi256EEvPKfS1_S1_S1_S1_S1_PKiPfiiiiiiiiiiilllll.uses_flat_scratch, 0
	.set _Z18ssm_scan_f32_groupILi8ELi256EEvPKfS1_S1_S1_S1_S1_PKiPfiiiiiiiiiiilllll.has_dyn_sized_stack, 0
	.set _Z18ssm_scan_f32_groupILi8ELi256EEvPKfS1_S1_S1_S1_S1_PKiPfiiiiiiiiiiilllll.has_recursion, 0
	.set _Z18ssm_scan_f32_groupILi8ELi256EEvPKfS1_S1_S1_S1_S1_PKiPfiiiiiiiiiiilllll.has_indirect_call, 0
	.section	.AMDGPU.csdata,"",@progbits
; Kernel info:
; codeLenInByte = 4368
; TotalNumSgprs: 57
; NumVgprs: 57
; ScratchSize: 0
; MemoryBound: 0
; FloatMode: 240
; IeeeMode: 1
; LDSByteSize: 0 bytes/workgroup (compile time only)
; SGPRBlocks: 7
; VGPRBlocks: 14
; NumSGPRsForWavesPerEU: 57
; NumVGPRsForWavesPerEU: 57
; Occupancy: 4
; WaveLimiterHint : 1
; COMPUTE_PGM_RSRC2:SCRATCH_EN: 0
; COMPUTE_PGM_RSRC2:USER_SGPR: 6
; COMPUTE_PGM_RSRC2:TRAP_HANDLER: 0
; COMPUTE_PGM_RSRC2:TGID_X_EN: 1
; COMPUTE_PGM_RSRC2:TGID_Y_EN: 1
; COMPUTE_PGM_RSRC2:TGID_Z_EN: 0
; COMPUTE_PGM_RSRC2:TIDIG_COMP_CNT: 0
	.section	.text._Z12ssm_scan_f32ILm128ELm16ELm1EEvPKfS1_S1_S1_S1_S1_PKiPfiiiiiiiiiiilll,"axG",@progbits,_Z12ssm_scan_f32ILm128ELm16ELm1EEvPKfS1_S1_S1_S1_S1_PKiPfiiiiiiiiiiilll,comdat
	.protected	_Z12ssm_scan_f32ILm128ELm16ELm1EEvPKfS1_S1_S1_S1_S1_PKiPfiiiiiiiiiiilll ; -- Begin function _Z12ssm_scan_f32ILm128ELm16ELm1EEvPKfS1_S1_S1_S1_S1_PKiPfiiiiiiiiiiilll
	.globl	_Z12ssm_scan_f32ILm128ELm16ELm1EEvPKfS1_S1_S1_S1_S1_PKiPfiiiiiiiiiiilll
	.p2align	8
	.type	_Z12ssm_scan_f32ILm128ELm16ELm1EEvPKfS1_S1_S1_S1_S1_PKiPfiiiiiiiiiiilll,@function
_Z12ssm_scan_f32ILm128ELm16ELm1EEvPKfS1_S1_S1_S1_S1_PKiPfiiiiiiiiiiilll: ; @_Z12ssm_scan_f32ILm128ELm16ELm1EEvPKfS1_S1_S1_S1_S1_PKiPfiiiiiiiiiiilll
; %bb.0:
	s_load_dwordx16 s[8:23], s[4:5], 0x0
	s_mov_b32 s2, s7
	s_mov_b32 s7, 0
	s_lshl_b64 s[0:1], s[6:7], 2
	v_mov_b32_e32 v2, 0
	s_waitcnt lgkmcnt(0)
	s_add_u32 s24, s20, s0
	s_addc_u32 s25, s21, s1
	s_load_dword s3, s[24:25], 0x0
	s_load_dwordx2 s[0:1], s[4:5], 0x40
	s_load_dwordx2 s[20:21], s[4:5], 0x54
	s_waitcnt lgkmcnt(0)
	s_mul_i32 s3, s3, s1
	s_ashr_i32 s24, s3, 31
	s_add_u32 s3, s8, s3
	s_addc_u32 s8, s9, s24
	s_lshl_b32 s9, s2, 7
	s_ashr_i32 s24, s0, 31
	s_mul_i32 s24, s9, s24
	s_mul_hi_u32 s25, s9, s0
	s_lshr_b32 s26, s2, 25
	s_add_i32 s24, s25, s24
	s_mul_i32 s25, s26, s0
	s_add_i32 s24, s24, s25
	s_mul_i32 s25, s9, s0
	s_add_u32 s3, s3, s25
	s_addc_u32 s8, s8, s24
	s_ashr_i32 s27, s21, 31
	s_mul_i32 s27, s9, s27
	s_mul_hi_u32 s28, s9, s21
	s_add_i32 s27, s28, s27
	s_mul_i32 s26, s26, s21
	s_add_i32 s27, s27, s26
	s_mul_i32 s9, s9, s21
	s_add_u32 s9, s14, s9
	s_addc_u32 s14, s15, s27
	s_ashr_i32 s15, s21, 2
	v_mul_lo_u32 v1, s15, v0
	s_ashr_i32 s0, s0, 2
	v_mov_b32_e32 v5, s14
	v_lshlrev_b64 v[3:4], 2, v[1:2]
	v_mul_lo_u32 v1, s0, v0
	v_add_co_u32_e32 v35, vcc, s9, v3
	v_addc_co_u32_e32 v36, vcc, v5, v4, vcc
	v_lshlrev_b64 v[33:34], 2, v[1:2]
	v_mov_b32_e32 v1, s8
	v_add_co_u32_e32 v37, vcc, s3, v33
	v_addc_co_u32_e32 v38, vcc, v1, v34, vcc
	global_load_dwordx4 v[5:8], v[35:36], off offset:48
	global_load_dwordx4 v[13:16], v[35:36], off offset:32
	;; [unrolled: 1-line block ×3, first 2 shown]
	global_load_dwordx4 v[29:32], v[35:36], off
	global_load_dwordx4 v[1:4], v[37:38], off offset:48
	global_load_dwordx4 v[9:12], v[37:38], off offset:32
	global_load_dwordx4 v[17:20], v[37:38], off offset:16
	global_load_dwordx4 v[25:28], v[37:38], off
	s_mov_b32 s3, s7
	v_cmp_gt_u32_e32 vcc, 16, v0
	v_lshlrev_b32_e32 v0, 2, v0
	s_and_saveexec_b64 s[8:9], vcc
	s_cbranch_execz .LBB2_2
; %bb.1:
	s_load_dword s0, s[4:5], 0x68
	s_load_dword s7, s[4:5], 0x60
	s_waitcnt lgkmcnt(0)
	s_mul_i32 s0, s0, s6
	s_add_u32 s14, s18, s0
	s_mul_i32 s7, s7, s6
	s_addc_u32 s15, s19, 0
	s_add_u32 s16, s16, s7
	s_addc_u32 s17, s17, 0
	global_load_dword v35, v0, s[16:17]
	global_load_dword v36, v0, s[14:15]
	s_waitcnt vmcnt(0)
	ds_write2_b32 v0, v35, v36 offset1:16
.LBB2_2:
	s_or_b64 exec, exec, s[8:9]
	s_lshl_b64 s[8:9], s[2:3], 9
	s_mul_i32 s0, s20, s6
	s_add_u32 s0, s12, s0
	s_addc_u32 s3, s13, 0
	s_add_u32 s2, s0, s8
	s_addc_u32 s3, s3, s9
	s_waitcnt vmcnt(0) lgkmcnt(0)
	s_barrier
	global_load_dword v35, v0, s[2:3]
	s_mov_b32 s0, 0x41a00000
	s_waitcnt vmcnt(0)
	v_cmp_ge_f32_e32 vcc, s0, v35
	s_and_saveexec_b64 s[2:3], vcc
	s_cbranch_execz .LBB2_4
; %bb.3:
	v_mul_f32_e32 v36, 0x3fb8aa3b, v35
	s_mov_b32 s0, 0x3fb8aa3b
	v_rndne_f32_e32 v37, v36
	v_sub_f32_e32 v38, v36, v37
	v_fma_f32 v36, v35, s0, -v36
	v_fmac_f32_e32 v36, 0x32a5705f, v35
	v_add_f32_e32 v36, v38, v36
	v_exp_f32_e32 v36, v36
	v_cvt_i32_f32_e32 v37, v37
	s_mov_b32 s0, 0xc2ce8ed0
	v_cmp_ngt_f32_e32 vcc, s0, v35
	s_mov_b32 s0, 0x42b17218
	v_ldexp_f32 v36, v36, v37
	v_cndmask_b32_e32 v36, 0, v36, vcc
	v_mov_b32_e32 v37, 0x7f800000
	v_cmp_nlt_f32_e32 vcc, s0, v35
	v_cndmask_b32_e32 v38, v37, v36, vcc
	v_add_f32_e32 v39, 1.0, v38
	v_cvt_f64_f32_e32 v[35:36], v39
	v_add_f32_e32 v40, -1.0, v39
	v_sub_f32_e32 v41, v40, v39
	v_sub_f32_e32 v40, v38, v40
	v_frexp_exp_i32_f64_e32 v35, v[35:36]
	v_add_f32_e32 v36, 1.0, v41
	v_add_f32_e32 v36, v40, v36
	v_frexp_mant_f32_e32 v40, v39
	s_mov_b32 s7, 0x3f2aaaab
	v_cmp_gt_f32_e32 vcc, s7, v40
	s_mov_b32 s7, 0x3f317218
	s_mov_b32 s0, 0x7f800000
	v_subbrev_co_u32_e32 v35, vcc, 0, v35, vcc
	v_sub_u32_e32 v40, 0, v35
	v_ldexp_f32 v39, v39, v40
	v_ldexp_f32 v36, v36, v40
	v_add_f32_e32 v40, -1.0, v39
	v_add_f32_e32 v43, 1.0, v39
	v_add_f32_e32 v41, 1.0, v40
	v_add_f32_e32 v44, -1.0, v43
	v_sub_f32_e32 v41, v39, v41
	v_sub_f32_e32 v39, v39, v44
	v_add_f32_e32 v41, v36, v41
	v_add_f32_e32 v36, v36, v39
	;; [unrolled: 1-line block ×3, first 2 shown]
	v_rcp_f32_e32 v44, v39
	v_add_f32_e32 v42, v40, v41
	v_sub_f32_e32 v40, v40, v42
	v_add_f32_e32 v40, v41, v40
	v_sub_f32_e32 v41, v43, v39
	v_add_f32_e32 v36, v36, v41
	v_mul_f32_e32 v41, v42, v44
	v_mul_f32_e32 v43, v39, v41
	v_fma_f32 v45, v41, v39, -v43
	v_fmac_f32_e32 v45, v41, v36
	v_add_f32_e32 v46, v43, v45
	v_sub_f32_e32 v47, v42, v46
	v_sub_f32_e32 v42, v42, v47
	;; [unrolled: 1-line block ×4, first 2 shown]
	v_add_f32_e32 v40, v40, v42
	v_sub_f32_e32 v42, v43, v45
	v_add_f32_e32 v40, v42, v40
	v_add_f32_e32 v42, v47, v40
	v_mul_f32_e32 v43, v44, v42
	v_mul_f32_e32 v45, v39, v43
	v_fma_f32 v39, v43, v39, -v45
	v_fmac_f32_e32 v39, v43, v36
	v_sub_f32_e32 v36, v47, v42
	v_add_f32_e32 v36, v40, v36
	v_add_f32_e32 v40, v45, v39
	v_sub_f32_e32 v46, v42, v40
	v_sub_f32_e32 v42, v42, v46
	;; [unrolled: 1-line block ×4, first 2 shown]
	v_add_f32_e32 v36, v36, v40
	v_sub_f32_e32 v39, v45, v39
	v_add_f32_e32 v36, v39, v36
	v_add_f32_e32 v39, v41, v43
	;; [unrolled: 1-line block ×3, first 2 shown]
	v_sub_f32_e32 v40, v39, v41
	v_mul_f32_e32 v36, v44, v36
	v_sub_f32_e32 v40, v43, v40
	v_add_f32_e32 v36, v40, v36
	v_cvt_f32_i32_e32 v35, v35
	v_add_f32_e32 v40, v39, v36
	v_mul_f32_e32 v41, v40, v40
	v_mov_b32_e32 v42, 0x3ecc95a3
	v_fmac_f32_e32 v42, 0x3e9b6dac, v41
	v_mov_b32_e32 v43, 0x3f2aaada
	v_fmac_f32_e32 v43, v41, v42
	v_mul_f32_e32 v42, 0x3f317218, v35
	v_fma_f32 v44, v35, s7, -v42
	v_fmac_f32_e32 v44, 0xb102e308, v35
	v_sub_f32_e32 v35, v40, v39
	v_sub_f32_e32 v35, v36, v35
	v_add_f32_e32 v36, v42, v44
	v_sub_f32_e32 v39, v36, v42
	v_ldexp_f32 v42, v40, 1
	v_mul_f32_e32 v40, v40, v41
	v_mul_f32_e32 v40, v40, v43
	v_add_f32_e32 v41, v42, v40
	v_sub_f32_e32 v42, v41, v42
	v_ldexp_f32 v35, v35, 1
	v_sub_f32_e32 v40, v40, v42
	v_add_f32_e32 v35, v35, v40
	v_add_f32_e32 v40, v41, v35
	v_sub_f32_e32 v41, v40, v41
	v_sub_f32_e32 v35, v35, v41
	v_add_f32_e32 v41, v36, v40
	v_sub_f32_e32 v42, v41, v36
	v_sub_f32_e32 v43, v41, v42
	;; [unrolled: 1-line block ×5, first 2 shown]
	v_add_f32_e32 v36, v40, v36
	v_add_f32_e32 v40, v39, v35
	v_sub_f32_e32 v42, v40, v39
	v_sub_f32_e32 v43, v40, v42
	;; [unrolled: 1-line block ×4, first 2 shown]
	v_add_f32_e32 v36, v40, v36
	v_add_f32_e32 v35, v35, v39
	;; [unrolled: 1-line block ×3, first 2 shown]
	v_sub_f32_e32 v40, v39, v41
	v_sub_f32_e32 v36, v36, v40
	v_add_f32_e32 v35, v35, v36
	v_add_f32_e32 v35, v39, v35
	v_cmp_neq_f32_e32 vcc, s0, v38
	s_mov_b32 s0, 0x33800000
	v_cndmask_b32_e32 v35, v37, v35, vcc
	v_cmp_gt_f32_e32 vcc, s0, v38
	v_cndmask_b32_e32 v35, v35, v38, vcc
.LBB2_4:
	s_or_b64 exec, exec, s[2:3]
	s_load_dwordx4 s[12:15], s[4:5], 0x70
	s_load_dword s0, s[4:5], 0x4c
	v_mul_f32_e32 v45, v35, v29
	v_mul_f32_e32 v46, v35, v30
	v_mul_f32_e32 v47, v35, v31
	s_waitcnt lgkmcnt(0)
	s_mul_i32 s3, s6, s15
	s_mul_hi_u32 s4, s6, s14
	s_mul_i32 s2, s6, s14
	s_add_i32 s3, s4, s3
	s_lshl_b64 s[2:3], s[2:3], 2
	s_add_u32 s2, s22, s2
	s_addc_u32 s3, s23, s3
	s_add_u32 s2, s2, s8
	s_mul_i32 s0, s0, s6
	s_addc_u32 s3, s3, s9
	s_add_u32 s0, s10, s0
	s_addc_u32 s5, s11, 0
	s_add_u32 s4, s0, s8
	s_addc_u32 s5, s5, s9
	global_load_dword v44, v0, s[4:5]
	s_mov_b32 s5, 0x3fb8aa3b
	v_mul_f32_e32 v50, v35, v32
	v_mul_f32_e32 v40, 0x3fb8aa3b, v45
	;; [unrolled: 1-line block ×5, first 2 shown]
	v_fma_f32 v51, v45, s5, -v40
	v_rndne_f32_e32 v52, v40
	v_fma_f32 v53, v46, s5, -v41
	v_rndne_f32_e32 v54, v41
	v_fma_f32 v55, v47, s5, -v42
	v_rndne_f32_e32 v56, v42
	v_fma_f32 v57, v50, s5, -v43
	v_rndne_f32_e32 v58, v43
	v_fmac_f32_e32 v51, 0x32a5705f, v45
	v_sub_f32_e32 v40, v40, v52
	v_fmac_f32_e32 v53, 0x32a5705f, v46
	v_sub_f32_e32 v41, v41, v54
	;; [unrolled: 2-line block ×4, first 2 shown]
	v_add_f32_e32 v40, v40, v51
	v_cvt_i32_f32_e32 v52, v52
	v_add_f32_e32 v51, v41, v53
	v_add_f32_e32 v53, v42, v55
	;; [unrolled: 1-line block ×3, first 2 shown]
	v_exp_f32_e32 v57, v40
	v_cvt_i32_f32_e32 v54, v54
	v_exp_f32_e32 v51, v51
	v_cvt_i32_f32_e32 v56, v56
	v_exp_f32_e32 v53, v53
	s_mov_b32 s4, 0xc2ce8ed0
	v_cvt_i32_f32_e32 v58, v58
	v_exp_f32_e32 v55, v55
	v_mov_b32_e32 v49, 0
	v_ldexp_f32 v52, v57, v52
	v_cmp_ngt_f32_e32 vcc, s4, v45
	ds_read_b128 v[29:32], v49
	ds_read_b128 v[36:39], v49 offset:16
	v_ldexp_f32 v51, v51, v54
	v_cndmask_b32_e32 v52, 0, v52, vcc
	v_cmp_ngt_f32_e32 vcc, s4, v46
	v_ldexp_f32 v53, v53, v56
	v_cndmask_b32_e32 v51, 0, v51, vcc
	v_cmp_ngt_f32_e32 vcc, s4, v47
	s_mul_i32 s7, s1, s6
	s_mov_b32 s6, 0x42b17218
	v_mul_f32_e32 v21, v35, v21
	v_ldexp_f32 v55, v55, v58
	v_cndmask_b32_e32 v53, 0, v53, vcc
	v_cmp_ngt_f32_e32 vcc, s4, v50
	v_mov_b32_e32 v48, 0x7f800000
	v_mul_f32_e32 v57, 0x3fb8aa3b, v21
	v_cndmask_b32_e32 v55, 0, v55, vcc
	v_cmp_nlt_f32_e32 vcc, s6, v50
	v_cmp_nlt_f32_e64 s[0:1], s6, v45
	v_fma_f32 v54, v21, s5, -v57
	v_rndne_f32_e32 v56, v57
	v_cndmask_b32_e64 v45, v48, v52, s[0:1]
	v_cmp_nlt_f32_e64 s[0:1], s6, v46
	v_fmac_f32_e32 v54, 0x32a5705f, v21
	v_cndmask_b32_e64 v46, v48, v51, s[0:1]
	v_cmp_nlt_f32_e64 s[0:1], s6, v47
	v_cndmask_b32_e64 v47, v48, v53, s[0:1]
	v_mul_f32_e32 v22, v35, v22
	ds_read_b128 v[40:43], v49 offset:64
	v_mul_f32_e32 v23, v35, v23
	v_mul_f32_e32 v13, v35, v13
	;; [unrolled: 1-line block ×7, first 2 shown]
	s_add_u32 s0, s22, s12
	s_addc_u32 s1, s23, s13
	s_add_u32 s0, s0, s7
	s_addc_u32 s1, s1, 0
	;; [unrolled: 2-line block ×3, first 2 shown]
	s_waitcnt vmcnt(0)
	v_mul_f32_e32 v50, v35, v44
	s_waitcnt lgkmcnt(2)
	v_mul_f32_e32 v29, v50, v29
	v_fmac_f32_e32 v29, v25, v45
	v_sub_f32_e32 v25, v57, v56
	v_mul_f32_e32 v31, v50, v31
	v_add_f32_e32 v25, v25, v54
	v_fmac_f32_e32 v31, v27, v47
	v_exp_f32_e32 v25, v25
	v_cvt_i32_f32_e32 v27, v56
	v_mul_f32_e32 v30, v50, v30
	v_fmac_f32_e32 v30, v26, v46
	v_cndmask_b32_e32 v26, v48, v55, vcc
	v_mul_f32_e32 v32, v50, v32
	v_fmac_f32_e32 v32, v28, v26
	v_mul_f32_e32 v26, 0x3fb8aa3b, v22
	v_ldexp_f32 v25, v25, v27
	v_fma_f32 v27, v22, s5, -v26
	v_rndne_f32_e32 v28, v26
	v_fmac_f32_e32 v27, 0x32a5705f, v22
	v_sub_f32_e32 v26, v26, v28
	v_add_f32_e32 v26, v26, v27
	v_exp_f32_e32 v26, v26
	v_cvt_i32_f32_e32 v27, v28
	v_cmp_ngt_f32_e32 vcc, s4, v21
	v_cndmask_b32_e32 v25, 0, v25, vcc
	v_cmp_nlt_f32_e32 vcc, s6, v21
	v_cndmask_b32_e32 v25, v48, v25, vcc
	s_waitcnt lgkmcnt(1)
	v_mul_f32_e32 v21, v50, v36
	ds_read_b128 v[44:47], v49 offset:80
	v_fmac_f32_e32 v21, v17, v25
	v_ldexp_f32 v17, v26, v27
	v_cmp_ngt_f32_e32 vcc, s4, v22
	s_waitcnt lgkmcnt(1)
	v_fma_f32 v51, v40, v29, 0
	v_cndmask_b32_e32 v17, 0, v17, vcc
	v_cmp_nlt_f32_e32 vcc, s6, v22
	v_mul_f32_e32 v22, 0x3fb8aa3b, v23
	v_fmac_f32_e32 v51, v41, v30
	v_fma_f32 v25, v23, s5, -v22
	v_rndne_f32_e32 v36, v22
	v_fmac_f32_e32 v51, v42, v31
	v_fmac_f32_e32 v25, 0x32a5705f, v23
	v_sub_f32_e32 v22, v22, v36
	v_fmac_f32_e32 v51, v43, v32
	v_add_f32_e32 v22, v22, v25
	s_waitcnt lgkmcnt(0)
	v_fmac_f32_e32 v51, v44, v21
	v_exp_f32_e32 v44, v22
	v_cvt_i32_f32_e32 v36, v36
	v_cndmask_b32_e32 v17, v48, v17, vcc
	v_mul_f32_e32 v22, v50, v37
	v_fmac_f32_e32 v22, v18, v17
	v_ldexp_f32 v17, v44, v36
	v_cmp_ngt_f32_e32 vcc, s4, v23
	v_mul_f32_e32 v18, v35, v24
	v_cndmask_b32_e32 v17, 0, v17, vcc
	v_cmp_nlt_f32_e32 vcc, s6, v23
	v_mul_f32_e32 v23, 0x3fb8aa3b, v18
	v_fma_f32 v24, v18, s5, -v23
	v_rndne_f32_e32 v36, v23
	v_fmac_f32_e32 v24, 0x32a5705f, v18
	v_sub_f32_e32 v23, v23, v36
	v_add_f32_e32 v23, v23, v24
	v_exp_f32_e32 v24, v23
	v_cvt_i32_f32_e32 v36, v36
	v_cndmask_b32_e32 v17, v48, v17, vcc
	v_mul_f32_e32 v23, v50, v38
	v_fmac_f32_e32 v23, v19, v17
	v_ldexp_f32 v17, v24, v36
	v_cmp_ngt_f32_e32 vcc, s4, v18
	v_cndmask_b32_e32 v17, 0, v17, vcc
	v_cmp_nlt_f32_e32 vcc, s6, v18
	v_mul_f32_e32 v18, 0x3fb8aa3b, v13
	v_fma_f32 v19, v13, s5, -v18
	v_rndne_f32_e32 v24, v18
	v_fmac_f32_e32 v19, 0x32a5705f, v13
	v_sub_f32_e32 v18, v18, v24
	v_add_f32_e32 v18, v18, v19
	v_exp_f32_e32 v18, v18
	v_cvt_i32_f32_e32 v19, v24
	ds_read_b128 v[25:28], v49 offset:32
	ds_read_b128 v[40:43], v49 offset:48
	v_cndmask_b32_e32 v17, v48, v17, vcc
	v_mul_f32_e32 v24, v50, v39
	v_fmac_f32_e32 v24, v20, v17
	v_ldexp_f32 v17, v18, v19
	v_cmp_ngt_f32_e32 vcc, s4, v13
	v_cndmask_b32_e32 v17, 0, v17, vcc
	v_cmp_nlt_f32_e32 vcc, s6, v13
	s_waitcnt lgkmcnt(1)
	v_mul_f32_e32 v13, v50, v25
	v_mul_f32_e32 v25, 0x3fb8aa3b, v14
	v_fma_f32 v37, v14, s5, -v25
	v_rndne_f32_e32 v38, v25
	v_fmac_f32_e32 v37, 0x32a5705f, v14
	v_sub_f32_e32 v25, v25, v38
	v_add_f32_e32 v25, v25, v37
	v_exp_f32_e32 v25, v25
	v_cvt_i32_f32_e32 v44, v38
	v_cndmask_b32_e32 v36, v48, v17, vcc
	ds_read_b128 v[17:20], v49 offset:96
	v_fmac_f32_e32 v51, v45, v22
	v_fmac_f32_e32 v51, v46, v23
	;; [unrolled: 1-line block ×3, first 2 shown]
	v_ldexp_f32 v9, v25, v44
	v_cmp_ngt_f32_e32 vcc, s4, v14
	v_fmac_f32_e32 v51, v47, v24
	v_cndmask_b32_e32 v9, 0, v9, vcc
	v_cmp_nlt_f32_e32 vcc, s6, v14
	v_mul_f32_e32 v14, 0x3fb8aa3b, v15
	ds_read_b128 v[36:39], v49 offset:112
	s_waitcnt lgkmcnt(1)
	v_fmac_f32_e32 v51, v17, v13
	v_fma_f32 v17, v15, s5, -v14
	v_rndne_f32_e32 v25, v14
	v_fmac_f32_e32 v17, 0x32a5705f, v15
	v_sub_f32_e32 v14, v14, v25
	v_add_f32_e32 v14, v14, v17
	v_exp_f32_e32 v17, v14
	v_cvt_i32_f32_e32 v25, v25
	v_cndmask_b32_e32 v9, v48, v9, vcc
	v_mul_f32_e32 v14, v50, v26
	v_fmac_f32_e32 v14, v10, v9
	v_ldexp_f32 v9, v17, v25
	v_cmp_ngt_f32_e32 vcc, s4, v15
	v_mul_f32_e32 v10, v35, v16
	v_cndmask_b32_e32 v9, 0, v9, vcc
	v_cmp_nlt_f32_e32 vcc, s6, v15
	v_mul_f32_e32 v15, 0x3fb8aa3b, v10
	v_fma_f32 v16, v10, s5, -v15
	v_rndne_f32_e32 v17, v15
	v_fmac_f32_e32 v16, 0x32a5705f, v10
	v_sub_f32_e32 v15, v15, v17
	v_add_f32_e32 v15, v15, v16
	v_exp_f32_e32 v16, v15
	v_cvt_i32_f32_e32 v17, v17
	v_cndmask_b32_e32 v9, v48, v9, vcc
	v_mul_f32_e32 v15, v50, v27
	v_fmac_f32_e32 v15, v11, v9
	v_ldexp_f32 v9, v16, v17
	v_cmp_ngt_f32_e32 vcc, s4, v10
	v_cndmask_b32_e32 v9, 0, v9, vcc
	v_cmp_nlt_f32_e32 vcc, s6, v10
	v_mul_f32_e32 v10, 0x3fb8aa3b, v5
	v_fma_f32 v11, v5, s5, -v10
	v_rndne_f32_e32 v16, v10
	v_fmac_f32_e32 v11, 0x32a5705f, v5
	v_sub_f32_e32 v10, v10, v16
	v_add_f32_e32 v10, v10, v11
	v_exp_f32_e32 v10, v10
	v_cvt_i32_f32_e32 v11, v16
	v_cndmask_b32_e32 v9, v48, v9, vcc
	v_mul_f32_e32 v16, v50, v28
	v_fmac_f32_e32 v16, v12, v9
	v_ldexp_f32 v9, v10, v11
	v_cmp_ngt_f32_e32 vcc, s4, v5
	;; [unrolled: 15-line block ×4, first 2 shown]
	v_mul_f32_e32 v2, v35, v8
	v_cndmask_b32_e32 v1, 0, v1, vcc
	v_cmp_nlt_f32_e32 vcc, s6, v7
	v_mul_f32_e32 v7, 0x3fb8aa3b, v2
	v_fma_f32 v8, v2, s5, -v7
	v_rndne_f32_e32 v9, v7
	v_fmac_f32_e32 v8, 0x32a5705f, v2
	v_sub_f32_e32 v7, v7, v9
	v_add_f32_e32 v7, v7, v8
	v_exp_f32_e32 v8, v7
	v_cvt_i32_f32_e32 v9, v9
	v_fmac_f32_e32 v51, v18, v14
	v_fmac_f32_e32 v51, v19, v15
	v_cndmask_b32_e32 v1, v48, v1, vcc
	v_mul_f32_e32 v7, v50, v42
	v_fmac_f32_e32 v51, v20, v16
	v_fmac_f32_e32 v7, v3, v1
	v_ldexp_f32 v1, v8, v9
	v_cmp_ngt_f32_e32 vcc, s4, v2
	s_waitcnt lgkmcnt(0)
	v_fmac_f32_e32 v51, v36, v5
	v_cndmask_b32_e32 v1, 0, v1, vcc
	v_cmp_nlt_f32_e32 vcc, s6, v2
	v_fmac_f32_e32 v51, v37, v6
	v_cndmask_b32_e32 v1, v48, v1, vcc
	v_mul_f32_e32 v8, v50, v43
	v_fmac_f32_e32 v51, v38, v7
	v_fmac_f32_e32 v8, v4, v1
	;; [unrolled: 1-line block ×3, first 2 shown]
	global_store_dword v0, v51, s[2:3]
	v_mov_b32_e32 v1, s1
	v_add_co_u32_e32 v0, vcc, s0, v33
	v_addc_co_u32_e32 v1, vcc, v1, v34, vcc
	s_waitcnt vmcnt(0)
	s_barrier
	global_store_dwordx4 v[0:1], v[29:32], off
	global_store_dwordx4 v[0:1], v[21:24], off offset:16
	global_store_dwordx4 v[0:1], v[13:16], off offset:32
	;; [unrolled: 1-line block ×3, first 2 shown]
	s_endpgm
	.section	.rodata,"a",@progbits
	.p2align	6, 0x0
	.amdhsa_kernel _Z12ssm_scan_f32ILm128ELm16ELm1EEvPKfS1_S1_S1_S1_S1_PKiPfiiiiiiiiiiilll
		.amdhsa_group_segment_fixed_size 128
		.amdhsa_private_segment_fixed_size 0
		.amdhsa_kernarg_size 136
		.amdhsa_user_sgpr_count 6
		.amdhsa_user_sgpr_private_segment_buffer 1
		.amdhsa_user_sgpr_dispatch_ptr 0
		.amdhsa_user_sgpr_queue_ptr 0
		.amdhsa_user_sgpr_kernarg_segment_ptr 1
		.amdhsa_user_sgpr_dispatch_id 0
		.amdhsa_user_sgpr_flat_scratch_init 0
		.amdhsa_user_sgpr_private_segment_size 0
		.amdhsa_uses_dynamic_stack 0
		.amdhsa_system_sgpr_private_segment_wavefront_offset 0
		.amdhsa_system_sgpr_workgroup_id_x 1
		.amdhsa_system_sgpr_workgroup_id_y 1
		.amdhsa_system_sgpr_workgroup_id_z 0
		.amdhsa_system_sgpr_workgroup_info 0
		.amdhsa_system_vgpr_workitem_id 0
		.amdhsa_next_free_vgpr 59
		.amdhsa_next_free_sgpr 29
		.amdhsa_reserve_vcc 1
		.amdhsa_reserve_flat_scratch 0
		.amdhsa_float_round_mode_32 0
		.amdhsa_float_round_mode_16_64 0
		.amdhsa_float_denorm_mode_32 3
		.amdhsa_float_denorm_mode_16_64 3
		.amdhsa_dx10_clamp 1
		.amdhsa_ieee_mode 1
		.amdhsa_fp16_overflow 0
		.amdhsa_exception_fp_ieee_invalid_op 0
		.amdhsa_exception_fp_denorm_src 0
		.amdhsa_exception_fp_ieee_div_zero 0
		.amdhsa_exception_fp_ieee_overflow 0
		.amdhsa_exception_fp_ieee_underflow 0
		.amdhsa_exception_fp_ieee_inexact 0
		.amdhsa_exception_int_div_zero 0
	.end_amdhsa_kernel
	.section	.text._Z12ssm_scan_f32ILm128ELm16ELm1EEvPKfS1_S1_S1_S1_S1_PKiPfiiiiiiiiiiilll,"axG",@progbits,_Z12ssm_scan_f32ILm128ELm16ELm1EEvPKfS1_S1_S1_S1_S1_PKiPfiiiiiiiiiiilll,comdat
.Lfunc_end2:
	.size	_Z12ssm_scan_f32ILm128ELm16ELm1EEvPKfS1_S1_S1_S1_S1_PKiPfiiiiiiiiiiilll, .Lfunc_end2-_Z12ssm_scan_f32ILm128ELm16ELm1EEvPKfS1_S1_S1_S1_S1_PKiPfiiiiiiiiiiilll
                                        ; -- End function
	.set _Z12ssm_scan_f32ILm128ELm16ELm1EEvPKfS1_S1_S1_S1_S1_PKiPfiiiiiiiiiiilll.num_vgpr, 59
	.set _Z12ssm_scan_f32ILm128ELm16ELm1EEvPKfS1_S1_S1_S1_S1_PKiPfiiiiiiiiiiilll.num_agpr, 0
	.set _Z12ssm_scan_f32ILm128ELm16ELm1EEvPKfS1_S1_S1_S1_S1_PKiPfiiiiiiiiiiilll.numbered_sgpr, 29
	.set _Z12ssm_scan_f32ILm128ELm16ELm1EEvPKfS1_S1_S1_S1_S1_PKiPfiiiiiiiiiiilll.num_named_barrier, 0
	.set _Z12ssm_scan_f32ILm128ELm16ELm1EEvPKfS1_S1_S1_S1_S1_PKiPfiiiiiiiiiiilll.private_seg_size, 0
	.set _Z12ssm_scan_f32ILm128ELm16ELm1EEvPKfS1_S1_S1_S1_S1_PKiPfiiiiiiiiiiilll.uses_vcc, 1
	.set _Z12ssm_scan_f32ILm128ELm16ELm1EEvPKfS1_S1_S1_S1_S1_PKiPfiiiiiiiiiiilll.uses_flat_scratch, 0
	.set _Z12ssm_scan_f32ILm128ELm16ELm1EEvPKfS1_S1_S1_S1_S1_PKiPfiiiiiiiiiiilll.has_dyn_sized_stack, 0
	.set _Z12ssm_scan_f32ILm128ELm16ELm1EEvPKfS1_S1_S1_S1_S1_PKiPfiiiiiiiiiiilll.has_recursion, 0
	.set _Z12ssm_scan_f32ILm128ELm16ELm1EEvPKfS1_S1_S1_S1_S1_PKiPfiiiiiiiiiiilll.has_indirect_call, 0
	.section	.AMDGPU.csdata,"",@progbits
; Kernel info:
; codeLenInByte = 2756
; TotalNumSgprs: 33
; NumVgprs: 59
; ScratchSize: 0
; MemoryBound: 0
; FloatMode: 240
; IeeeMode: 1
; LDSByteSize: 128 bytes/workgroup (compile time only)
; SGPRBlocks: 4
; VGPRBlocks: 14
; NumSGPRsForWavesPerEU: 33
; NumVGPRsForWavesPerEU: 59
; Occupancy: 4
; WaveLimiterHint : 1
; COMPUTE_PGM_RSRC2:SCRATCH_EN: 0
; COMPUTE_PGM_RSRC2:USER_SGPR: 6
; COMPUTE_PGM_RSRC2:TRAP_HANDLER: 0
; COMPUTE_PGM_RSRC2:TGID_X_EN: 1
; COMPUTE_PGM_RSRC2:TGID_Y_EN: 1
; COMPUTE_PGM_RSRC2:TGID_Z_EN: 0
; COMPUTE_PGM_RSRC2:TIDIG_COMP_CNT: 0
	.section	.text._Z12ssm_scan_f32ILm128ELm16ELm2EEvPKfS1_S1_S1_S1_S1_PKiPfiiiiiiiiiiilll,"axG",@progbits,_Z12ssm_scan_f32ILm128ELm16ELm2EEvPKfS1_S1_S1_S1_S1_PKiPfiiiiiiiiiiilll,comdat
	.protected	_Z12ssm_scan_f32ILm128ELm16ELm2EEvPKfS1_S1_S1_S1_S1_PKiPfiiiiiiiiiiilll ; -- Begin function _Z12ssm_scan_f32ILm128ELm16ELm2EEvPKfS1_S1_S1_S1_S1_PKiPfiiiiiiiiiiilll
	.globl	_Z12ssm_scan_f32ILm128ELm16ELm2EEvPKfS1_S1_S1_S1_S1_PKiPfiiiiiiiiiiilll
	.p2align	8
	.type	_Z12ssm_scan_f32ILm128ELm16ELm2EEvPKfS1_S1_S1_S1_S1_PKiPfiiiiiiiiiiilll,@function
_Z12ssm_scan_f32ILm128ELm16ELm2EEvPKfS1_S1_S1_S1_S1_PKiPfiiiiiiiiiiilll: ; @_Z12ssm_scan_f32ILm128ELm16ELm2EEvPKfS1_S1_S1_S1_S1_PKiPfiiiiiiiiiiilll
; %bb.0:
	s_load_dwordx16 s[8:23], s[4:5], 0x0
	s_load_dwordx8 s[24:31], s[4:5], 0x40
	s_mov_b32 s2, s7
	s_mov_b32 s7, 0
	s_lshl_b64 s[0:1], s[6:7], 2
	s_waitcnt lgkmcnt(0)
	s_add_u32 s0, s20, s0
	s_addc_u32 s1, s21, s1
	s_load_dword s0, s[0:1], 0x0
	v_mov_b32_e32 v2, 0
	s_load_dwordx4 s[40:43], s[4:5], 0x60
	v_lshlrev_b32_e32 v42, 2, v0
	v_add_u32_e32 v43, 64, v42
	s_waitcnt lgkmcnt(0)
	s_mul_i32 s0, s0, s25
	s_ashr_i32 s1, s0, 31
	s_add_u32 s0, s8, s0
	s_addc_u32 s1, s9, s1
	s_lshl_b32 s3, s2, 7
	s_ashr_i32 s8, s24, 31
	s_mul_i32 s8, s3, s8
	s_mul_hi_u32 s9, s3, s24
	s_add_i32 s8, s9, s8
	s_lshr_b32 s9, s2, 25
	s_mul_i32 s20, s9, s24
	s_add_i32 s33, s8, s20
	s_mul_i32 s34, s3, s24
	s_add_u32 s0, s0, s34
	s_addc_u32 s1, s1, s33
	s_ashr_i32 s8, s30, 31
	s_mul_i32 s8, s3, s8
	s_mul_hi_u32 s20, s3, s30
	s_add_i32 s8, s20, s8
	s_mul_i32 s9, s9, s30
	s_add_i32 s8, s8, s9
	s_mul_i32 s3, s3, s30
	s_add_u32 s3, s14, s3
	s_addc_u32 s8, s15, s8
	s_ashr_i32 s9, s30, 2
	v_mul_lo_u32 v1, s9, v0
	s_ashr_i32 s9, s24, 2
	v_mov_b32_e32 v5, s8
	v_lshlrev_b64 v[3:4], 2, v[1:2]
	v_mul_lo_u32 v1, s9, v0
	v_add_co_u32_e32 v35, vcc, s3, v3
	v_addc_co_u32_e32 v36, vcc, v5, v4, vcc
	v_lshlrev_b64 v[33:34], 2, v[1:2]
	v_mov_b32_e32 v1, s1
	v_add_co_u32_e32 v37, vcc, s0, v33
	v_addc_co_u32_e32 v38, vcc, v1, v34, vcc
	global_load_dwordx4 v[1:4], v[35:36], off offset:48
	global_load_dwordx4 v[5:8], v[35:36], off offset:32
	;; [unrolled: 1-line block ×3, first 2 shown]
	global_load_dwordx4 v[13:16], v[35:36], off
	global_load_dwordx4 v[17:20], v[37:38], off offset:48
	global_load_dwordx4 v[21:24], v[37:38], off offset:32
	;; [unrolled: 1-line block ×3, first 2 shown]
	global_load_dwordx4 v[29:32], v[37:38], off
	s_mul_i32 s0, s40, s6
	s_add_u32 s0, s16, s0
	s_mov_b32 s3, s7
	s_mul_i32 s1, s42, s6
	s_addc_u32 s7, s17, 0
	s_add_u32 s8, s18, s1
	v_cmp_gt_u32_e32 vcc, 16, v0
	v_mov_b32_e32 v0, s7
	v_add_co_u32_e64 v37, s[0:1], s0, v42
	s_addc_u32 s9, s19, 0
	v_addc_co_u32_e64 v38, s[0:1], 0, v0, s[0:1]
	v_mov_b32_e32 v0, s9
	v_add_co_u32_e64 v35, s[0:1], s8, v42
	v_addc_co_u32_e64 v36, s[0:1], 0, v0, s[0:1]
	s_and_saveexec_b64 s[0:1], vcc
	s_cbranch_execz .LBB3_2
; %bb.1:
	global_load_dword v0, v[37:38], off
	global_load_dword v39, v[35:36], off
	s_waitcnt vmcnt(1)
	ds_write_b32 v42, v0
	s_waitcnt vmcnt(0)
	ds_write_b32 v43, v39
.LBB3_2:
	s_or_b64 exec, exec, s[0:1]
	s_lshl_b64 s[18:19], s[2:3], 9
	s_mul_i32 s0, s29, s6
	s_add_u32 s0, s12, s0
	s_addc_u32 s1, s13, 0
	s_add_u32 s0, s0, s18
	s_addc_u32 s1, s1, s19
	s_waitcnt vmcnt(0) lgkmcnt(0)
	s_barrier
	global_load_dword v48, v42, s[0:1]
	v_mov_b32_e32 v0, s1
	v_add_co_u32_e64 v44, s[0:1], s0, v42
	v_addc_co_u32_e64 v45, s[0:1], 0, v0, s[0:1]
	s_mov_b32 s0, 0x41a00000
	s_waitcnt vmcnt(0)
	v_cmp_ge_f32_e64 s[0:1], s0, v48
	s_and_saveexec_b64 s[2:3], s[0:1]
	s_cbranch_execz .LBB3_4
; %bb.3:
	v_mul_f32_e32 v0, 0x3fb8aa3b, v48
	s_mov_b32 s0, 0x3fb8aa3b
	v_rndne_f32_e32 v39, v0
	v_sub_f32_e32 v40, v0, v39
	v_fma_f32 v0, v48, s0, -v0
	v_fmac_f32_e32 v0, 0x32a5705f, v48
	v_add_f32_e32 v0, v40, v0
	v_exp_f32_e32 v0, v0
	v_cvt_i32_f32_e32 v39, v39
	s_mov_b32 s0, 0xc2ce8ed0
	v_cmp_ngt_f32_e64 s[0:1], s0, v48
	v_mov_b32_e32 v41, 0x7f800000
	v_ldexp_f32 v0, v0, v39
	v_cndmask_b32_e64 v0, 0, v0, s[0:1]
	s_mov_b32 s0, 0x42b17218
	v_cmp_nlt_f32_e64 s[0:1], s0, v48
	v_cndmask_b32_e64 v0, v41, v0, s[0:1]
	v_add_f32_e32 v46, 1.0, v0
	v_cvt_f64_f32_e32 v[39:40], v46
	v_add_f32_e32 v47, -1.0, v46
	v_sub_f32_e32 v48, v47, v46
	v_sub_f32_e32 v47, v0, v47
	v_frexp_exp_i32_f64_e32 v39, v[39:40]
	v_add_f32_e32 v40, 1.0, v48
	v_add_f32_e32 v40, v47, v40
	v_frexp_mant_f32_e32 v47, v46
	s_mov_b32 s0, 0x3f2aaaab
	v_cmp_gt_f32_e64 s[0:1], s0, v47
	s_mov_b32 s7, 0x7f800000
	v_subbrev_co_u32_e64 v39, s[0:1], 0, v39, s[0:1]
	v_sub_u32_e32 v47, 0, v39
	v_ldexp_f32 v46, v46, v47
	v_ldexp_f32 v40, v40, v47
	v_add_f32_e32 v47, -1.0, v46
	v_add_f32_e32 v50, 1.0, v46
	v_add_f32_e32 v48, 1.0, v47
	v_add_f32_e32 v51, -1.0, v50
	v_sub_f32_e32 v48, v46, v48
	v_sub_f32_e32 v46, v46, v51
	v_add_f32_e32 v48, v40, v48
	v_add_f32_e32 v40, v40, v46
	;; [unrolled: 1-line block ×3, first 2 shown]
	v_rcp_f32_e32 v51, v46
	v_add_f32_e32 v49, v47, v48
	v_sub_f32_e32 v47, v47, v49
	v_add_f32_e32 v47, v48, v47
	v_sub_f32_e32 v48, v50, v46
	v_add_f32_e32 v40, v40, v48
	v_mul_f32_e32 v48, v49, v51
	v_mul_f32_e32 v50, v46, v48
	v_fma_f32 v52, v48, v46, -v50
	v_fmac_f32_e32 v52, v48, v40
	v_add_f32_e32 v53, v50, v52
	v_sub_f32_e32 v54, v49, v53
	v_sub_f32_e32 v49, v49, v54
	;; [unrolled: 1-line block ×4, first 2 shown]
	v_add_f32_e32 v47, v47, v49
	v_sub_f32_e32 v49, v50, v52
	v_add_f32_e32 v47, v49, v47
	v_add_f32_e32 v49, v54, v47
	v_mul_f32_e32 v50, v51, v49
	v_mul_f32_e32 v52, v46, v50
	v_fma_f32 v46, v50, v46, -v52
	v_fmac_f32_e32 v46, v50, v40
	v_sub_f32_e32 v40, v54, v49
	v_add_f32_e32 v40, v47, v40
	v_add_f32_e32 v47, v52, v46
	v_sub_f32_e32 v53, v49, v47
	v_sub_f32_e32 v49, v49, v53
	;; [unrolled: 1-line block ×4, first 2 shown]
	v_add_f32_e32 v40, v40, v47
	v_sub_f32_e32 v46, v52, v46
	v_add_f32_e32 v40, v46, v40
	v_add_f32_e32 v46, v48, v50
	;; [unrolled: 1-line block ×3, first 2 shown]
	v_sub_f32_e32 v47, v46, v48
	v_mul_f32_e32 v40, v51, v40
	v_sub_f32_e32 v47, v50, v47
	v_add_f32_e32 v40, v47, v40
	v_cvt_f32_i32_e32 v39, v39
	v_add_f32_e32 v47, v46, v40
	v_mul_f32_e32 v48, v47, v47
	v_mov_b32_e32 v49, 0x3ecc95a3
	v_fmac_f32_e32 v49, 0x3e9b6dac, v48
	v_mov_b32_e32 v50, 0x3f2aaada
	v_fmac_f32_e32 v50, v48, v49
	s_mov_b32 s0, 0x3f317218
	v_mul_f32_e32 v49, 0x3f317218, v39
	v_fma_f32 v51, v39, s0, -v49
	v_fmac_f32_e32 v51, 0xb102e308, v39
	v_sub_f32_e32 v39, v47, v46
	v_sub_f32_e32 v39, v40, v39
	v_add_f32_e32 v40, v49, v51
	v_sub_f32_e32 v46, v40, v49
	v_ldexp_f32 v49, v47, 1
	v_mul_f32_e32 v47, v47, v48
	v_mul_f32_e32 v47, v47, v50
	v_add_f32_e32 v48, v49, v47
	v_sub_f32_e32 v49, v48, v49
	v_ldexp_f32 v39, v39, 1
	v_sub_f32_e32 v47, v47, v49
	v_add_f32_e32 v39, v39, v47
	v_add_f32_e32 v47, v48, v39
	v_sub_f32_e32 v48, v47, v48
	v_sub_f32_e32 v39, v39, v48
	v_add_f32_e32 v48, v40, v47
	v_sub_f32_e32 v49, v48, v40
	v_sub_f32_e32 v50, v48, v49
	;; [unrolled: 1-line block ×5, first 2 shown]
	v_add_f32_e32 v40, v47, v40
	v_add_f32_e32 v47, v46, v39
	v_sub_f32_e32 v49, v47, v46
	v_sub_f32_e32 v50, v47, v49
	;; [unrolled: 1-line block ×4, first 2 shown]
	v_add_f32_e32 v40, v47, v40
	v_add_f32_e32 v39, v39, v46
	;; [unrolled: 1-line block ×3, first 2 shown]
	v_sub_f32_e32 v47, v46, v48
	v_sub_f32_e32 v40, v40, v47
	v_add_f32_e32 v39, v39, v40
	v_add_f32_e32 v39, v46, v39
	v_cmp_neq_f32_e64 s[0:1], s7, v0
	v_cndmask_b32_e64 v39, v41, v39, s[0:1]
	s_mov_b32 s0, 0x33800000
	v_cmp_gt_f32_e64 s[0:1], s0, v0
	v_cndmask_b32_e64 v48, v39, v0, s[0:1]
.LBB3_4:
	s_or_b64 exec, exec, s[2:3]
	s_load_dwordx4 s[36:39], s[4:5], 0x70
	s_mul_i32 s2, s27, s6
	v_mul_f32_e32 v39, v48, v13
	s_mov_b32 s27, 0x3fb8aa3b
	v_mul_f32_e32 v40, v48, v14
	s_waitcnt lgkmcnt(0)
	s_mul_i32 s1, s6, s39
	s_mul_hi_u32 s3, s6, s38
	s_mul_i32 s0, s6, s38
	s_add_i32 s1, s3, s1
	s_lshl_b64 s[0:1], s[0:1], 3
	s_add_u32 s30, s22, s0
	s_addc_u32 s29, s23, s1
	s_add_u32 s0, s10, s2
	s_addc_u32 s1, s11, 0
	;; [unrolled: 2-line block ×3, first 2 shown]
	global_load_dword v0, v42, s[20:21]
	v_mul_f32_e32 v54, 0x3fb8aa3b, v39
	s_mov_b32 s7, 0xc2ce8ed0
	s_mov_b32 s24, 0x42b17218
	v_mul_f32_e32 v41, v48, v15
	v_mul_f32_e32 v55, 0x3fb8aa3b, v40
	v_fma_f32 v60, v39, s27, -v54
	v_mul_f32_e32 v49, v48, v16
	v_mul_f32_e32 v56, 0x3fb8aa3b, v41
	v_cmp_ngt_f32_e64 s[12:13], s7, v39
	v_cmp_nlt_f32_e64 s[10:11], s24, v39
	v_fmac_f32_e32 v60, 0x32a5705f, v39
	v_fma_f32 v39, v40, s27, -v55
	v_mul_f32_e32 v57, 0x3fb8aa3b, v49
	v_cmp_ngt_f32_e64 s[14:15], s7, v40
	v_cmp_nlt_f32_e64 s[16:17], s24, v40
	v_fmac_f32_e32 v39, 0x32a5705f, v40
	v_fma_f32 v40, v41, s27, -v56
	v_cmp_ngt_f32_e64 s[8:9], s7, v41
	v_cmp_nlt_f32_e64 s[2:3], s24, v41
	v_fmac_f32_e32 v40, 0x32a5705f, v41
	v_fma_f32 v41, v49, s27, -v57
	v_cmp_ngt_f32_e64 s[4:5], s7, v49
	v_cmp_nlt_f32_e64 s[0:1], s24, v49
	v_rndne_f32_e32 v61, v54
	v_fmac_f32_e32 v41, 0x32a5705f, v49
	v_rndne_f32_e32 v49, v55
	v_sub_f32_e32 v54, v54, v61
	v_sub_f32_e32 v55, v55, v49
	v_mul_f32_e32 v58, v48, v9
	v_add_f32_e32 v54, v54, v60
	v_rndne_f32_e32 v60, v56
	v_add_f32_e32 v39, v55, v39
	v_rndne_f32_e32 v55, v57
	v_mul_f32_e32 v59, 0x3fb8aa3b, v58
	v_sub_f32_e32 v56, v56, v60
	v_sub_f32_e32 v57, v57, v55
	v_add_f32_e32 v40, v56, v40
	v_fma_f32 v56, v58, s27, -v59
	v_add_f32_e32 v41, v57, v41
	v_rndne_f32_e32 v57, v59
	v_mov_b32_e32 v47, 0
	v_cvt_i32_f32_e32 v61, v61
	v_cvt_i32_f32_e32 v49, v49
	v_fmac_f32_e32 v56, 0x32a5705f, v58
	v_sub_f32_e32 v59, v59, v57
	v_exp_f32_e32 v54, v54
	v_exp_f32_e32 v39, v39
	ds_read_b128 v[50:53], v47
	v_cvt_i32_f32_e32 v55, v55
	v_add_f32_e32 v56, v59, v56
	v_exp_f32_e32 v59, v41
	v_cvt_i32_f32_e32 v60, v60
	v_exp_f32_e32 v40, v40
	v_cvt_i32_f32_e32 v57, v57
	v_exp_f32_e32 v56, v56
	v_ldexp_f32 v54, v54, v61
	v_ldexp_f32 v61, v39, v49
	v_mov_b32_e32 v46, 0x7f800000
	v_ldexp_f32 v59, v59, v55
	v_cndmask_b32_e64 v54, 0, v54, s[12:13]
	v_cndmask_b32_e64 v55, 0, v61, s[14:15]
	v_ldexp_f32 v60, v40, v60
	v_cndmask_b32_e64 v54, v46, v54, s[10:11]
	v_cndmask_b32_e64 v55, v46, v55, s[16:17]
	v_ldexp_f32 v62, v56, v57
	s_waitcnt vmcnt(0)
	v_mul_f32_e32 v49, v48, v0
	s_waitcnt lgkmcnt(0)
	v_mul_f32_e32 v39, v49, v50
	v_mul_f32_e32 v40, v49, v51
	;; [unrolled: 1-line block ×4, first 2 shown]
	ds_read_b128 v[50:53], v47 offset:16
	v_fmac_f32_e32 v39, v29, v54
	v_fmac_f32_e32 v40, v30, v55
	ds_read_b128 v[54:57], v47 offset:64
	v_cndmask_b32_e64 v30, 0, v59, s[4:5]
	v_cndmask_b32_e64 v29, 0, v60, s[8:9]
	;; [unrolled: 1-line block ×4, first 2 shown]
	v_fmac_f32_e32 v0, v32, v30
	v_mul_f32_e32 v30, v48, v10
	v_fmac_f32_e32 v41, v31, v29
	s_waitcnt lgkmcnt(0)
	v_fma_f32 v32, v54, v39, 0
	v_mul_f32_e32 v31, 0x3fb8aa3b, v30
	v_fmac_f32_e32 v32, v55, v40
	v_fma_f32 v54, v30, s27, -v31
	v_rndne_f32_e32 v55, v31
	v_fmac_f32_e32 v54, 0x32a5705f, v30
	v_sub_f32_e32 v31, v31, v55
	v_add_f32_e32 v31, v31, v54
	v_exp_f32_e32 v31, v31
	v_cvt_i32_f32_e32 v54, v55
	v_cmp_ngt_f32_e64 s[0:1], s7, v58
	v_cndmask_b32_e64 v29, 0, v62, s[0:1]
	v_cmp_nlt_f32_e64 s[0:1], s24, v58
	v_cndmask_b32_e64 v55, v46, v29, s[0:1]
	v_mul_f32_e32 v29, v49, v50
	v_fmac_f32_e32 v29, v25, v55
	v_ldexp_f32 v25, v31, v54
	v_mul_f32_e32 v31, v48, v11
	v_mul_f32_e32 v50, 0x3fb8aa3b, v31
	v_fma_f32 v54, v31, s27, -v50
	v_rndne_f32_e32 v55, v50
	v_fmac_f32_e32 v54, 0x32a5705f, v31
	v_sub_f32_e32 v50, v50, v55
	v_add_f32_e32 v50, v50, v54
	v_exp_f32_e32 v50, v50
	v_cvt_i32_f32_e32 v54, v55
	v_cmp_ngt_f32_e64 s[0:1], s7, v30
	v_cndmask_b32_e64 v25, 0, v25, s[0:1]
	v_cmp_nlt_f32_e64 s[0:1], s24, v30
	v_cndmask_b32_e64 v30, v46, v25, s[0:1]
	v_mul_f32_e32 v25, v49, v51
	v_fmac_f32_e32 v25, v26, v30
	v_ldexp_f32 v26, v50, v54
	v_mul_f32_e32 v50, v48, v12
	v_mul_f32_e32 v30, 0x3fb8aa3b, v50
	v_fma_f32 v51, v50, s27, -v30
	v_rndne_f32_e32 v58, v30
	v_fmac_f32_e32 v51, 0x32a5705f, v50
	v_sub_f32_e32 v30, v30, v58
	v_add_f32_e32 v30, v30, v51
	v_exp_f32_e32 v51, v30
	v_cvt_i32_f32_e32 v58, v58
	v_cmp_ngt_f32_e64 s[0:1], s7, v31
	v_cndmask_b32_e64 v26, 0, v26, s[0:1]
	v_cmp_nlt_f32_e64 s[0:1], s24, v31
	v_cndmask_b32_e64 v26, v46, v26, s[0:1]
	v_mul_f32_e32 v30, v49, v52
	v_fmac_f32_e32 v30, v27, v26
	v_ldexp_f32 v26, v51, v58
	v_cmp_ngt_f32_e64 s[0:1], s7, v50
	v_mul_f32_e32 v31, v48, v5
	v_cndmask_b32_e64 v26, 0, v26, s[0:1]
	v_cmp_nlt_f32_e64 s[0:1], s24, v50
	v_mul_f32_e32 v50, 0x3fb8aa3b, v31
	v_fma_f32 v51, v31, s27, -v50
	v_rndne_f32_e32 v52, v50
	v_fmac_f32_e32 v51, 0x32a5705f, v31
	v_sub_f32_e32 v50, v50, v52
	v_add_f32_e32 v50, v50, v51
	v_exp_f32_e32 v58, v50
	v_cvt_i32_f32_e32 v59, v52
	v_mul_f32_e32 v27, v49, v53
	v_cndmask_b32_e64 v26, v46, v26, s[0:1]
	v_fmac_f32_e32 v27, v28, v26
	v_ldexp_f32 v26, v58, v59
	v_mul_f32_e32 v58, v48, v6
	v_fmac_f32_e32 v32, v56, v41
	v_mul_f32_e32 v28, 0x3fb8aa3b, v58
	v_fmac_f32_e32 v32, v57, v0
	ds_read_b128 v[54:57], v47 offset:80
	ds_read_b128 v[50:53], v47 offset:32
	v_fma_f32 v59, v58, s27, -v28
	v_rndne_f32_e32 v60, v28
	v_fmac_f32_e32 v59, 0x32a5705f, v58
	v_sub_f32_e32 v28, v28, v60
	v_add_f32_e32 v28, v28, v59
	v_cmp_ngt_f32_e64 s[0:1], s7, v31
	v_exp_f32_e32 v59, v28
	v_cvt_i32_f32_e32 v60, v60
	v_cndmask_b32_e64 v26, 0, v26, s[0:1]
	v_cmp_nlt_f32_e64 s[0:1], s24, v31
	v_cndmask_b32_e64 v26, v46, v26, s[0:1]
	s_waitcnt lgkmcnt(0)
	v_mul_f32_e32 v28, v49, v50
	v_mul_f32_e32 v31, v48, v7
	v_fmac_f32_e32 v28, v21, v26
	v_mul_f32_e32 v26, 0x3fb8aa3b, v31
	v_ldexp_f32 v21, v59, v60
	v_fma_f32 v50, v31, s27, -v26
	v_rndne_f32_e32 v59, v26
	v_fmac_f32_e32 v50, 0x32a5705f, v31
	v_sub_f32_e32 v26, v26, v59
	v_cmp_ngt_f32_e64 s[0:1], s7, v58
	v_add_f32_e32 v26, v26, v50
	v_cndmask_b32_e64 v21, 0, v21, s[0:1]
	v_cmp_nlt_f32_e64 s[0:1], s24, v58
	v_mov_b32_e32 v60, s21
	v_exp_f32_e32 v61, v26
	v_cvt_i32_f32_e32 v59, v59
	v_cndmask_b32_e64 v21, v46, v21, s[0:1]
	v_add_co_u32_e64 v50, s[0:1], s20, v42
	v_mul_f32_e32 v26, v49, v51
	v_addc_co_u32_e64 v51, s[0:1], 0, v60, s[0:1]
	v_cmp_ngt_f32_e64 s[0:1], s7, v31
	v_cmp_nlt_f32_e64 s[2:3], s24, v31
	v_mul_f32_e32 v31, v48, v8
	v_fmac_f32_e32 v26, v22, v21
	v_mul_f32_e32 v22, v49, v52
	v_mul_f32_e32 v52, 0x3fb8aa3b, v31
	v_ldexp_f32 v58, v61, v59
	v_mul_f32_e32 v21, v49, v53
	v_fma_f32 v53, v31, s27, -v52
	v_rndne_f32_e32 v59, v52
	v_fmac_f32_e32 v53, 0x32a5705f, v31
	v_sub_f32_e32 v52, v52, v59
	v_add_f32_e32 v52, v52, v53
	v_exp_f32_e32 v52, v52
	v_cvt_i32_f32_e32 v53, v59
	v_cndmask_b32_e64 v58, 0, v58, s[0:1]
	v_cndmask_b32_e64 v58, v46, v58, s[2:3]
	v_fmac_f32_e32 v22, v23, v58
	v_ldexp_f32 v23, v52, v53
	v_cmp_ngt_f32_e64 s[0:1], s7, v31
	v_cndmask_b32_e64 v23, 0, v23, s[0:1]
	v_cmp_nlt_f32_e64 s[0:1], s24, v31
	v_cndmask_b32_e64 v23, v46, v23, s[0:1]
	v_fmac_f32_e32 v21, v24, v23
	v_mul_f32_e32 v23, v48, v1
	v_mul_f32_e32 v24, 0x3fb8aa3b, v23
	v_fma_f32 v31, v23, s27, -v24
	v_rndne_f32_e32 v52, v24
	v_fmac_f32_e32 v31, 0x32a5705f, v23
	v_sub_f32_e32 v24, v24, v52
	v_add_f32_e32 v24, v24, v31
	v_exp_f32_e32 v24, v24
	v_cvt_i32_f32_e32 v31, v52
	v_cmp_ngt_f32_e64 s[0:1], s7, v23
	ds_read_b128 v[58:61], v47 offset:48
	ds_read_b128 v[62:65], v47 offset:96
	v_fmac_f32_e32 v32, v54, v29
	v_ldexp_f32 v24, v24, v31
	v_cndmask_b32_e64 v24, 0, v24, s[0:1]
	v_cmp_nlt_f32_e64 s[0:1], s24, v23
	v_mul_f32_e32 v23, v48, v2
	v_mul_f32_e32 v31, 0x3fb8aa3b, v23
	v_fma_f32 v52, v23, s27, -v31
	v_rndne_f32_e32 v53, v31
	v_fmac_f32_e32 v52, 0x32a5705f, v23
	v_sub_f32_e32 v31, v31, v53
	v_add_f32_e32 v31, v31, v52
	v_exp_f32_e32 v31, v31
	v_cvt_i32_f32_e32 v52, v53
	v_cndmask_b32_e64 v53, v46, v24, s[0:1]
	s_waitcnt lgkmcnt(1)
	v_mul_f32_e32 v24, v49, v58
	v_fmac_f32_e32 v24, v17, v53
	v_ldexp_f32 v17, v31, v52
	v_cmp_ngt_f32_e64 s[0:1], s7, v23
	v_mul_f32_e32 v31, v48, v3
	v_cndmask_b32_e64 v17, 0, v17, s[0:1]
	v_cmp_nlt_f32_e64 s[0:1], s24, v23
	v_mul_f32_e32 v23, 0x3fb8aa3b, v31
	v_fma_f32 v52, v31, s27, -v23
	v_rndne_f32_e32 v53, v23
	v_fmac_f32_e32 v52, 0x32a5705f, v31
	v_sub_f32_e32 v23, v23, v53
	v_add_f32_e32 v23, v23, v52
	v_exp_f32_e32 v52, v23
	v_cvt_i32_f32_e32 v53, v53
	v_cndmask_b32_e64 v17, v46, v17, s[0:1]
	v_mul_f32_e32 v23, v49, v59
	v_fmac_f32_e32 v23, v18, v17
	v_ldexp_f32 v17, v52, v53
	v_cmp_ngt_f32_e64 s[0:1], s7, v31
	v_cndmask_b32_e64 v17, 0, v17, s[0:1]
	v_cmp_nlt_f32_e64 s[0:1], s24, v31
	v_mul_f32_e32 v31, v48, v4
	v_cndmask_b32_e64 v18, v46, v17, s[0:1]
	v_mul_f32_e32 v17, 0x3fb8aa3b, v31
	v_fma_f32 v48, v31, s27, -v17
	v_rndne_f32_e32 v52, v17
	v_fmac_f32_e32 v32, v55, v25
	v_fmac_f32_e32 v48, 0x32a5705f, v31
	v_sub_f32_e32 v17, v17, v52
	v_fmac_f32_e32 v32, v56, v30
	v_add_f32_e32 v17, v17, v48
	s_add_u32 s4, s30, s18
	v_fmac_f32_e32 v32, v57, v27
	v_exp_f32_e32 v48, v17
	v_cvt_i32_f32_e32 v56, v52
	ds_read_b128 v[52:55], v47 offset:112
	s_addc_u32 s5, s29, s19
	s_waitcnt lgkmcnt(1)
	v_fmac_f32_e32 v32, v62, v28
	v_mul_f32_e32 v17, v49, v60
	v_mov_b32_e32 v66, s5
	v_fmac_f32_e32 v32, v63, v26
	v_fmac_f32_e32 v17, v19, v18
	v_add_co_u32_e64 v18, s[0:1], s4, v42
	v_fmac_f32_e32 v32, v64, v22
	v_addc_co_u32_e64 v19, s[0:1], 0, v66, s[0:1]
	v_fmac_f32_e32 v32, v65, v21
	v_ldexp_f32 v47, v48, v56
	v_cmp_ngt_f32_e64 s[0:1], s7, v31
	s_waitcnt lgkmcnt(0)
	v_fmac_f32_e32 v32, v52, v24
	v_cndmask_b32_e64 v47, 0, v47, s[0:1]
	v_cmp_nlt_f32_e64 s[0:1], s24, v31
	v_fmac_f32_e32 v32, v53, v23
	v_cndmask_b32_e64 v46, v46, v47, s[0:1]
	v_mul_f32_e32 v31, v49, v61
	v_fmac_f32_e32 v32, v54, v17
	v_fmac_f32_e32 v31, v20, v46
	;; [unrolled: 1-line block ×3, first 2 shown]
	global_store_dword v42, v32, s[4:5]
	s_waitcnt vmcnt(0)
	s_barrier
	s_and_saveexec_b64 s[0:1], vcc
	s_cbranch_execz .LBB3_6
; %bb.5:
	s_ashr_i32 s2, s31, 2
	s_ashr_i32 s3, s2, 31
	;; [unrolled: 1-line block ×3, first 2 shown]
	s_lshl_b64 s[2:3], s[2:3], 2
	s_ashr_i32 s5, s4, 31
	v_mov_b32_e32 v20, s3
	v_add_co_u32_e32 v37, vcc, s2, v37
	v_addc_co_u32_e32 v38, vcc, v38, v20, vcc
	s_lshl_b64 s[2:3], s[4:5], 2
	v_mov_b32_e32 v32, s3
	v_add_co_u32_e32 v35, vcc, s2, v35
	global_load_dword v20, v[37:38], off
	v_addc_co_u32_e32 v36, vcc, v36, v32, vcc
	global_load_dword v32, v[35:36], off
	s_waitcnt vmcnt(1)
	ds_write_b32 v42, v20
	s_waitcnt vmcnt(0)
	ds_write_b32 v43, v32
.LBB3_6:
	s_or_b64 exec, exec, s[0:1]
	s_ashr_i32 s0, s28, 2
	s_ashr_i32 s1, s0, 31
	s_lshl_b64 s[0:1], s[0:1], 2
	v_mov_b32_e32 v20, s1
	v_add_co_u32_e32 v35, vcc, s0, v44
	v_addc_co_u32_e32 v36, vcc, v45, v20, vcc
	s_waitcnt lgkmcnt(0)
	s_barrier
	global_load_dword v20, v[35:36], off
	s_mov_b32 s0, 0x41a00000
	s_waitcnt vmcnt(0)
	v_cmp_ge_f32_e32 vcc, s0, v20
	s_and_saveexec_b64 s[0:1], vcc
	s_cbranch_execz .LBB3_8
; %bb.7:
	v_mul_f32_e32 v32, 0x3fb8aa3b, v20
	s_mov_b32 s2, 0x3fb8aa3b
	v_rndne_f32_e32 v35, v32
	v_sub_f32_e32 v36, v32, v35
	v_fma_f32 v32, v20, s2, -v32
	v_fmac_f32_e32 v32, 0x32a5705f, v20
	v_add_f32_e32 v32, v36, v32
	v_exp_f32_e32 v32, v32
	v_cvt_i32_f32_e32 v35, v35
	s_mov_b32 s2, 0xc2ce8ed0
	v_cmp_ngt_f32_e32 vcc, s2, v20
	s_mov_b32 s2, 0x42b17218
	v_ldexp_f32 v32, v32, v35
	v_cndmask_b32_e32 v32, 0, v32, vcc
	v_mov_b32_e32 v37, 0x7f800000
	v_cmp_nlt_f32_e32 vcc, s2, v20
	v_cndmask_b32_e32 v20, v37, v32, vcc
	v_add_f32_e32 v32, 1.0, v20
	v_cvt_f64_f32_e32 v[35:36], v32
	v_add_f32_e32 v38, -1.0, v32
	v_sub_f32_e32 v42, v38, v32
	v_sub_f32_e32 v38, v20, v38
	v_frexp_exp_i32_f64_e32 v35, v[35:36]
	v_add_f32_e32 v36, 1.0, v42
	v_add_f32_e32 v36, v38, v36
	v_frexp_mant_f32_e32 v38, v32
	s_mov_b32 s3, 0x3f2aaaab
	v_cmp_gt_f32_e32 vcc, s3, v38
	s_mov_b32 s3, 0x3f317218
	s_mov_b32 s2, 0x7f800000
	v_subbrev_co_u32_e32 v35, vcc, 0, v35, vcc
	v_sub_u32_e32 v38, 0, v35
	v_ldexp_f32 v32, v32, v38
	v_ldexp_f32 v36, v36, v38
	v_add_f32_e32 v38, -1.0, v32
	v_add_f32_e32 v44, 1.0, v32
	v_add_f32_e32 v42, 1.0, v38
	v_add_f32_e32 v45, -1.0, v44
	v_sub_f32_e32 v42, v32, v42
	v_sub_f32_e32 v32, v32, v45
	v_add_f32_e32 v32, v36, v32
	v_add_f32_e32 v42, v36, v42
	;; [unrolled: 1-line block ×3, first 2 shown]
	v_rcp_f32_e32 v45, v36
	v_add_f32_e32 v43, v38, v42
	v_sub_f32_e32 v38, v38, v43
	v_add_f32_e32 v38, v42, v38
	v_sub_f32_e32 v42, v44, v36
	v_add_f32_e32 v32, v32, v42
	v_mul_f32_e32 v42, v43, v45
	v_mul_f32_e32 v44, v36, v42
	v_fma_f32 v46, v42, v36, -v44
	v_fmac_f32_e32 v46, v42, v32
	v_add_f32_e32 v47, v44, v46
	v_sub_f32_e32 v48, v43, v47
	v_sub_f32_e32 v43, v43, v48
	;; [unrolled: 1-line block ×4, first 2 shown]
	v_add_f32_e32 v38, v38, v43
	v_sub_f32_e32 v43, v44, v46
	v_add_f32_e32 v38, v43, v38
	v_add_f32_e32 v43, v48, v38
	v_mul_f32_e32 v44, v45, v43
	v_mul_f32_e32 v46, v36, v44
	v_fma_f32 v36, v44, v36, -v46
	v_fmac_f32_e32 v36, v44, v32
	v_sub_f32_e32 v32, v48, v43
	v_add_f32_e32 v32, v38, v32
	v_add_f32_e32 v38, v46, v36
	v_sub_f32_e32 v47, v43, v38
	v_sub_f32_e32 v43, v43, v47
	;; [unrolled: 1-line block ×4, first 2 shown]
	v_add_f32_e32 v32, v32, v38
	v_sub_f32_e32 v36, v46, v36
	v_add_f32_e32 v32, v36, v32
	v_add_f32_e32 v36, v42, v44
	;; [unrolled: 1-line block ×3, first 2 shown]
	v_sub_f32_e32 v38, v36, v42
	v_mul_f32_e32 v32, v45, v32
	v_sub_f32_e32 v38, v44, v38
	v_add_f32_e32 v32, v38, v32
	v_cvt_f32_i32_e32 v35, v35
	v_add_f32_e32 v38, v36, v32
	v_mul_f32_e32 v42, v38, v38
	v_mov_b32_e32 v43, 0x3ecc95a3
	v_fmac_f32_e32 v43, 0x3e9b6dac, v42
	v_mov_b32_e32 v44, 0x3f2aaada
	v_fmac_f32_e32 v44, v42, v43
	v_mul_f32_e32 v43, 0x3f317218, v35
	v_fma_f32 v45, v35, s3, -v43
	v_fmac_f32_e32 v45, 0xb102e308, v35
	v_sub_f32_e32 v35, v38, v36
	v_sub_f32_e32 v32, v32, v35
	v_add_f32_e32 v35, v43, v45
	v_sub_f32_e32 v36, v35, v43
	v_ldexp_f32 v43, v38, 1
	v_mul_f32_e32 v38, v38, v42
	v_mul_f32_e32 v38, v38, v44
	v_add_f32_e32 v42, v43, v38
	v_sub_f32_e32 v43, v42, v43
	v_ldexp_f32 v32, v32, 1
	v_sub_f32_e32 v38, v38, v43
	v_add_f32_e32 v32, v32, v38
	v_add_f32_e32 v38, v42, v32
	v_sub_f32_e32 v42, v38, v42
	v_sub_f32_e32 v32, v32, v42
	v_add_f32_e32 v42, v35, v38
	v_sub_f32_e32 v43, v42, v35
	v_sub_f32_e32 v44, v42, v43
	;; [unrolled: 1-line block ×5, first 2 shown]
	v_add_f32_e32 v35, v38, v35
	v_add_f32_e32 v38, v36, v32
	v_sub_f32_e32 v43, v38, v36
	v_sub_f32_e32 v44, v38, v43
	;; [unrolled: 1-line block ×4, first 2 shown]
	v_add_f32_e32 v35, v38, v35
	v_add_f32_e32 v32, v32, v36
	;; [unrolled: 1-line block ×3, first 2 shown]
	v_sub_f32_e32 v38, v36, v42
	v_sub_f32_e32 v35, v35, v38
	v_add_f32_e32 v32, v32, v35
	v_add_f32_e32 v32, v36, v32
	v_cmp_neq_f32_e32 vcc, s2, v20
	s_mov_b32 s2, 0x33800000
	v_cndmask_b32_e32 v32, v37, v32, vcc
	v_cmp_gt_f32_e32 vcc, s2, v20
	v_cndmask_b32_e32 v20, v32, v20, vcc
.LBB3_8:
	s_or_b64 exec, exec, s[0:1]
	s_ashr_i32 s0, s26, 2
	s_ashr_i32 s1, s0, 31
	s_add_u32 s2, s22, s36
	s_addc_u32 s3, s23, s37
	s_mul_i32 s4, s25, s6
	s_add_u32 s6, s2, s4
	s_addc_u32 s7, s3, 0
	s_lshl_b64 s[0:1], s[0:1], 2
	v_mov_b32_e32 v32, s1
	v_add_co_u32_e32 v35, vcc, s0, v50
	v_addc_co_u32_e32 v36, vcc, v51, v32, vcc
	global_load_dword v46, v[35:36], off
	v_mul_f32_e32 v47, v20, v13
	v_mul_f32_e32 v14, v20, v14
	s_mov_b32 s9, 0x3fb8aa3b
	v_mul_f32_e32 v15, v20, v15
	v_mul_f32_e32 v48, 0x3fb8aa3b, v47
	;; [unrolled: 1-line block ×5, first 2 shown]
	v_fma_f32 v52, v47, s9, -v48
	v_rndne_f32_e32 v53, v48
	v_fma_f32 v55, v14, s9, -v49
	v_rndne_f32_e32 v56, v49
	v_mul_f32_e32 v51, 0x3fb8aa3b, v16
	v_fma_f32 v57, v15, s9, -v50
	v_rndne_f32_e32 v58, v50
	v_fmac_f32_e32 v52, 0x32a5705f, v47
	v_sub_f32_e32 v48, v48, v53
	v_fmac_f32_e32 v55, 0x32a5705f, v14
	v_sub_f32_e32 v49, v49, v56
	v_add_f32_e32 v48, v48, v52
	v_fma_f32 v52, v16, s9, -v51
	v_add_f32_e32 v49, v49, v55
	v_rndne_f32_e32 v55, v51
	v_fmac_f32_e32 v57, 0x32a5705f, v15
	v_sub_f32_e32 v50, v50, v58
	v_cvt_i32_f32_e32 v53, v53
	v_fmac_f32_e32 v52, 0x32a5705f, v16
	v_sub_f32_e32 v51, v51, v55
	v_add_f32_e32 v50, v50, v57
	v_exp_f32_e32 v48, v48
	v_cvt_i32_f32_e32 v56, v56
	v_cvt_i32_f32_e32 v58, v58
	v_add_f32_e32 v51, v51, v52
	v_exp_f32_e32 v49, v49
	v_exp_f32_e32 v50, v50
	v_cvt_i32_f32_e32 v55, v55
	v_exp_f32_e32 v51, v51
	s_mov_b32 s8, 0xc2ce8ed0
	v_mov_b32_e32 v32, 0
	s_mov_b32 s10, 0x42b17218
	ds_read_b128 v[35:38], v32
	ds_read_b128 v[42:45], v32 offset:16
	v_ldexp_f32 v48, v48, v53
	v_cmp_ngt_f32_e32 vcc, s8, v47
	v_mov_b32_e32 v13, 0x7f800000
	v_ldexp_f32 v49, v49, v56
	v_ldexp_f32 v56, v50, v58
	v_cndmask_b32_e32 v57, 0, v48, vcc
	v_cmp_nlt_f32_e32 vcc, s10, v47
	v_cmp_ngt_f32_e64 s[2:3], s8, v15
	v_ldexp_f32 v55, v51, v55
	v_cmp_ngt_f32_e64 s[0:1], s8, v14
	v_cndmask_b32_e64 v56, 0, v56, s[2:3]
	v_cmp_ngt_f32_e64 s[2:3], s8, v16
	v_cndmask_b32_e32 v57, v13, v57, vcc
	v_cmp_nlt_f32_e32 vcc, s10, v15
	v_mul_f32_e32 v9, v20, v9
	v_cndmask_b32_e64 v58, 0, v49, s[0:1]
	v_cmp_nlt_f32_e64 s[0:1], s10, v14
	v_cndmask_b32_e64 v55, 0, v55, s[2:3]
	v_cndmask_b32_e32 v15, v13, v56, vcc
	v_cmp_nlt_f32_e32 vcc, s10, v16
	v_mul_f32_e32 v54, 0x3fb8aa3b, v9
	v_cndmask_b32_e32 v16, v13, v55, vcc
	v_mul_f32_e32 v10, v20, v10
	v_cndmask_b32_e64 v58, v13, v58, s[0:1]
	v_cmp_ngt_f32_e32 vcc, s8, v9
	v_mul_f32_e32 v11, v20, v11
	v_mul_f32_e32 v5, v20, v5
	;; [unrolled: 1-line block ×9, first 2 shown]
	s_mov_b32 s4, 0
	s_mov_b32 s5, s38
	s_ashr_i64 s[0:1], s[4:5], 30
	s_waitcnt vmcnt(0)
	v_mul_f32_e32 v14, v20, v46
	s_waitcnt lgkmcnt(1)
	v_mul_f32_e32 v38, v14, v38
	v_mul_f32_e32 v35, v14, v35
	v_fmac_f32_e32 v38, v0, v16
	v_fma_f32 v0, v9, s9, -v54
	v_rndne_f32_e32 v16, v54
	v_fmac_f32_e32 v35, v39, v57
	v_fmac_f32_e32 v0, 0x32a5705f, v9
	v_sub_f32_e32 v39, v54, v16
	v_add_f32_e32 v0, v39, v0
	v_exp_f32_e32 v0, v0
	v_cvt_i32_f32_e32 v16, v16
	v_mul_f32_e32 v36, v14, v36
	v_fmac_f32_e32 v36, v40, v58
	ds_read_b128 v[46:49], v32 offset:64
	ds_read_b128 v[50:53], v32 offset:80
	v_ldexp_f32 v0, v0, v16
	v_mul_f32_e32 v16, 0x3fb8aa3b, v10
	v_fma_f32 v39, v10, s9, -v16
	v_rndne_f32_e32 v40, v16
	v_fmac_f32_e32 v39, 0x32a5705f, v10
	v_sub_f32_e32 v16, v16, v40
	v_add_f32_e32 v16, v16, v39
	v_exp_f32_e32 v16, v16
	v_cvt_i32_f32_e32 v39, v40
	v_cndmask_b32_e32 v0, 0, v0, vcc
	v_cmp_nlt_f32_e32 vcc, s10, v9
	v_cndmask_b32_e32 v0, v13, v0, vcc
	s_waitcnt lgkmcnt(2)
	v_mul_f32_e32 v9, v14, v42
	v_fmac_f32_e32 v9, v29, v0
	v_ldexp_f32 v0, v16, v39
	v_mul_f32_e32 v16, 0x3fb8aa3b, v11
	v_fma_f32 v29, v11, s9, -v16
	v_rndne_f32_e32 v39, v16
	v_fmac_f32_e32 v29, 0x32a5705f, v11
	v_sub_f32_e32 v16, v16, v39
	v_add_f32_e32 v16, v16, v29
	v_exp_f32_e32 v16, v16
	v_cvt_i32_f32_e32 v29, v39
	v_cmp_ngt_f32_e32 vcc, s8, v10
	v_cndmask_b32_e32 v0, 0, v0, vcc
	v_cmp_nlt_f32_e32 vcc, s10, v10
	v_cndmask_b32_e32 v0, v13, v0, vcc
	v_mul_f32_e32 v10, v14, v43
	v_fmac_f32_e32 v10, v25, v0
	v_ldexp_f32 v0, v16, v29
	v_cmp_ngt_f32_e32 vcc, s8, v11
	v_mul_f32_e32 v16, v20, v12
	v_cndmask_b32_e32 v0, 0, v0, vcc
	v_cmp_nlt_f32_e32 vcc, s10, v11
	v_mul_f32_e32 v11, 0x3fb8aa3b, v16
	v_fma_f32 v12, v16, s9, -v11
	v_rndne_f32_e32 v25, v11
	v_fmac_f32_e32 v12, 0x32a5705f, v16
	v_sub_f32_e32 v11, v11, v25
	v_cndmask_b32_e32 v0, v13, v0, vcc
	v_add_f32_e32 v12, v11, v12
	v_mul_f32_e32 v11, v14, v44
	v_fmac_f32_e32 v11, v30, v0
	v_exp_f32_e32 v0, v12
	v_cvt_i32_f32_e32 v12, v25
	v_mul_f32_e32 v25, 0x3fb8aa3b, v5
	v_fma_f32 v29, v5, s9, -v25
	v_rndne_f32_e32 v30, v25
	v_fmac_f32_e32 v29, 0x32a5705f, v5
	v_sub_f32_e32 v25, v25, v30
	v_add_f32_e32 v25, v25, v29
	v_exp_f32_e32 v25, v25
	v_cvt_i32_f32_e32 v29, v30
	v_ldexp_f32 v0, v0, v12
	v_cmp_ngt_f32_e32 vcc, s8, v16
	v_cndmask_b32_e32 v0, 0, v0, vcc
	v_cmp_nlt_f32_e32 vcc, s10, v16
	v_mul_f32_e32 v12, v14, v45
	v_cndmask_b32_e32 v0, v13, v0, vcc
	v_mul_f32_e32 v37, v14, v37
	v_fmac_f32_e32 v12, v27, v0
	v_ldexp_f32 v0, v25, v29
	v_cmp_ngt_f32_e32 vcc, s8, v5
	v_fmac_f32_e32 v37, v41, v15
	s_waitcnt lgkmcnt(1)
	v_fma_f32 v15, v46, v35, 0
	v_cndmask_b32_e32 v0, 0, v0, vcc
	v_cmp_nlt_f32_e32 vcc, s10, v5
	v_mul_f32_e32 v5, 0x3fb8aa3b, v6
	v_fmac_f32_e32 v15, v47, v36
	v_fma_f32 v16, v6, s9, -v5
	v_rndne_f32_e32 v25, v5
	v_fmac_f32_e32 v15, v48, v37
	v_fmac_f32_e32 v16, 0x32a5705f, v6
	v_sub_f32_e32 v5, v5, v25
	v_fmac_f32_e32 v15, v49, v38
	ds_read_b128 v[39:42], v32 offset:32
	ds_read_b128 v[46:49], v32 offset:48
	v_add_f32_e32 v5, v5, v16
	v_exp_f32_e32 v16, v5
	v_cvt_i32_f32_e32 v25, v25
	v_cndmask_b32_e32 v0, v13, v0, vcc
	s_waitcnt lgkmcnt(1)
	v_mul_f32_e32 v5, v14, v39
	v_fmac_f32_e32 v5, v28, v0
	v_ldexp_f32 v0, v16, v25
	v_cmp_ngt_f32_e32 vcc, s8, v6
	v_cndmask_b32_e32 v0, 0, v0, vcc
	v_cmp_nlt_f32_e32 vcc, s10, v6
	v_mul_f32_e32 v6, 0x3fb8aa3b, v7
	v_fma_f32 v16, v7, s9, -v6
	v_rndne_f32_e32 v25, v6
	v_fmac_f32_e32 v16, 0x32a5705f, v7
	v_sub_f32_e32 v6, v6, v25
	v_add_f32_e32 v6, v6, v16
	v_exp_f32_e32 v16, v6
	v_cvt_i32_f32_e32 v29, v25
	v_cndmask_b32_e32 v0, v13, v0, vcc
	v_mul_f32_e32 v6, v14, v40
	v_fmac_f32_e32 v6, v26, v0
	v_ldexp_f32 v0, v16, v29
	v_cmp_ngt_f32_e32 vcc, s8, v7
	v_cndmask_b32_e32 v0, 0, v0, vcc
	v_cmp_nlt_f32_e32 vcc, s10, v7
	v_mul_f32_e32 v7, 0x3fb8aa3b, v8
	v_fma_f32 v16, v8, s9, -v7
	v_rndne_f32_e32 v29, v7
	v_fmac_f32_e32 v16, 0x32a5705f, v8
	v_sub_f32_e32 v7, v7, v29
	v_add_f32_e32 v7, v7, v16
	v_exp_f32_e32 v16, v7
	v_cvt_i32_f32_e32 v29, v29
	v_cndmask_b32_e32 v0, v13, v0, vcc
	;; [unrolled: 15-line block ×3, first 2 shown]
	v_mul_f32_e32 v8, v14, v42
	v_fmac_f32_e32 v8, v21, v0
	v_ldexp_f32 v0, v16, v22
	v_cmp_ngt_f32_e32 vcc, s8, v1
	v_cndmask_b32_e32 v0, 0, v0, vcc
	v_cmp_nlt_f32_e32 vcc, s10, v1
	v_cndmask_b32_e32 v1, v13, v0, vcc
	v_mul_f32_e32 v0, 0x3fb8aa3b, v2
	v_fma_f32 v16, v2, s9, -v0
	v_rndne_f32_e32 v21, v0
	v_fmac_f32_e32 v16, 0x32a5705f, v2
	v_sub_f32_e32 v0, v0, v21
	v_add_f32_e32 v0, v0, v16
	v_exp_f32_e32 v16, v0
	v_cvt_i32_f32_e32 v21, v21
	s_waitcnt lgkmcnt(0)
	v_mul_f32_e32 v0, v14, v46
	v_fmac_f32_e32 v0, v24, v1
	v_cmp_ngt_f32_e32 vcc, s8, v2
	v_ldexp_f32 v1, v16, v21
	v_cndmask_b32_e32 v1, 0, v1, vcc
	v_cmp_nlt_f32_e32 vcc, s10, v2
	v_cndmask_b32_e32 v2, v13, v1, vcc
	v_mul_f32_e32 v1, 0x3fb8aa3b, v3
	v_fma_f32 v16, v3, s9, -v1
	v_rndne_f32_e32 v21, v1
	v_fmac_f32_e32 v16, 0x32a5705f, v3
	v_sub_f32_e32 v1, v1, v21
	v_add_f32_e32 v1, v1, v16
	v_exp_f32_e32 v16, v1
	v_cvt_i32_f32_e32 v21, v21
	v_fmac_f32_e32 v15, v50, v9
	v_mul_f32_e32 v1, v14, v47
	v_fmac_f32_e32 v15, v51, v10
	v_fmac_f32_e32 v1, v23, v2
	v_ldexp_f32 v2, v16, v21
	v_cmp_ngt_f32_e32 vcc, s8, v3
	v_fmac_f32_e32 v15, v52, v11
	v_cndmask_b32_e32 v2, 0, v2, vcc
	v_cmp_nlt_f32_e32 vcc, s10, v3
	v_fmac_f32_e32 v15, v53, v12
	ds_read_b128 v[50:53], v32 offset:96
	ds_read_b128 v[25:28], v32 offset:112
	v_cndmask_b32_e32 v3, v13, v2, vcc
	v_mul_f32_e32 v2, 0x3fb8aa3b, v4
	v_fma_f32 v16, v4, s9, -v2
	v_rndne_f32_e32 v20, v2
	v_fmac_f32_e32 v16, 0x32a5705f, v4
	v_sub_f32_e32 v2, v2, v20
	v_add_f32_e32 v2, v2, v16
	v_exp_f32_e32 v16, v2
	v_cvt_i32_f32_e32 v20, v20
	s_waitcnt lgkmcnt(1)
	v_fmac_f32_e32 v15, v50, v5
	v_fmac_f32_e32 v15, v51, v6
	;; [unrolled: 1-line block ×3, first 2 shown]
	v_mul_f32_e32 v2, v14, v48
	v_fmac_f32_e32 v15, v53, v8
	v_fmac_f32_e32 v2, v17, v3
	v_ldexp_f32 v3, v16, v20
	v_cmp_ngt_f32_e32 vcc, s8, v4
	s_waitcnt lgkmcnt(0)
	v_fmac_f32_e32 v15, v25, v0
	v_cndmask_b32_e32 v3, 0, v3, vcc
	v_cmp_nlt_f32_e32 vcc, s10, v4
	v_fmac_f32_e32 v15, v26, v1
	v_cndmask_b32_e32 v4, v13, v3, vcc
	v_mul_f32_e32 v3, v14, v49
	v_fmac_f32_e32 v15, v27, v2
	v_fmac_f32_e32 v3, v31, v4
	v_mov_b32_e32 v4, s1
	v_add_co_u32_e32 v13, vcc, s0, v18
	s_add_u32 s0, s6, s34
	v_fmac_f32_e32 v15, v28, v3
	v_addc_co_u32_e32 v14, vcc, v19, v4, vcc
	s_addc_u32 s1, s7, s33
	global_store_dword v[13:14], v15, off
	v_mov_b32_e32 v4, s1
	v_add_co_u32_e32 v13, vcc, s0, v33
	v_addc_co_u32_e32 v14, vcc, v4, v34, vcc
	s_waitcnt vmcnt(0)
	s_barrier
	global_store_dwordx4 v[13:14], v[35:38], off
	global_store_dwordx4 v[13:14], v[9:12], off offset:16
	global_store_dwordx4 v[13:14], v[5:8], off offset:32
	;; [unrolled: 1-line block ×3, first 2 shown]
	s_endpgm
	.section	.rodata,"a",@progbits
	.p2align	6, 0x0
	.amdhsa_kernel _Z12ssm_scan_f32ILm128ELm16ELm2EEvPKfS1_S1_S1_S1_S1_PKiPfiiiiiiiiiiilll
		.amdhsa_group_segment_fixed_size 128
		.amdhsa_private_segment_fixed_size 0
		.amdhsa_kernarg_size 136
		.amdhsa_user_sgpr_count 6
		.amdhsa_user_sgpr_private_segment_buffer 1
		.amdhsa_user_sgpr_dispatch_ptr 0
		.amdhsa_user_sgpr_queue_ptr 0
		.amdhsa_user_sgpr_kernarg_segment_ptr 1
		.amdhsa_user_sgpr_dispatch_id 0
		.amdhsa_user_sgpr_flat_scratch_init 0
		.amdhsa_user_sgpr_private_segment_size 0
		.amdhsa_uses_dynamic_stack 0
		.amdhsa_system_sgpr_private_segment_wavefront_offset 0
		.amdhsa_system_sgpr_workgroup_id_x 1
		.amdhsa_system_sgpr_workgroup_id_y 1
		.amdhsa_system_sgpr_workgroup_id_z 0
		.amdhsa_system_sgpr_workgroup_info 0
		.amdhsa_system_vgpr_workitem_id 0
		.amdhsa_next_free_vgpr 67
		.amdhsa_next_free_sgpr 44
		.amdhsa_reserve_vcc 1
		.amdhsa_reserve_flat_scratch 0
		.amdhsa_float_round_mode_32 0
		.amdhsa_float_round_mode_16_64 0
		.amdhsa_float_denorm_mode_32 3
		.amdhsa_float_denorm_mode_16_64 3
		.amdhsa_dx10_clamp 1
		.amdhsa_ieee_mode 1
		.amdhsa_fp16_overflow 0
		.amdhsa_exception_fp_ieee_invalid_op 0
		.amdhsa_exception_fp_denorm_src 0
		.amdhsa_exception_fp_ieee_div_zero 0
		.amdhsa_exception_fp_ieee_overflow 0
		.amdhsa_exception_fp_ieee_underflow 0
		.amdhsa_exception_fp_ieee_inexact 0
		.amdhsa_exception_int_div_zero 0
	.end_amdhsa_kernel
	.section	.text._Z12ssm_scan_f32ILm128ELm16ELm2EEvPKfS1_S1_S1_S1_S1_PKiPfiiiiiiiiiiilll,"axG",@progbits,_Z12ssm_scan_f32ILm128ELm16ELm2EEvPKfS1_S1_S1_S1_S1_PKiPfiiiiiiiiiiilll,comdat
.Lfunc_end3:
	.size	_Z12ssm_scan_f32ILm128ELm16ELm2EEvPKfS1_S1_S1_S1_S1_PKiPfiiiiiiiiiiilll, .Lfunc_end3-_Z12ssm_scan_f32ILm128ELm16ELm2EEvPKfS1_S1_S1_S1_S1_PKiPfiiiiiiiiiiilll
                                        ; -- End function
	.set _Z12ssm_scan_f32ILm128ELm16ELm2EEvPKfS1_S1_S1_S1_S1_PKiPfiiiiiiiiiiilll.num_vgpr, 67
	.set _Z12ssm_scan_f32ILm128ELm16ELm2EEvPKfS1_S1_S1_S1_S1_PKiPfiiiiiiiiiiilll.num_agpr, 0
	.set _Z12ssm_scan_f32ILm128ELm16ELm2EEvPKfS1_S1_S1_S1_S1_PKiPfiiiiiiiiiiilll.numbered_sgpr, 44
	.set _Z12ssm_scan_f32ILm128ELm16ELm2EEvPKfS1_S1_S1_S1_S1_PKiPfiiiiiiiiiiilll.num_named_barrier, 0
	.set _Z12ssm_scan_f32ILm128ELm16ELm2EEvPKfS1_S1_S1_S1_S1_PKiPfiiiiiiiiiiilll.private_seg_size, 0
	.set _Z12ssm_scan_f32ILm128ELm16ELm2EEvPKfS1_S1_S1_S1_S1_PKiPfiiiiiiiiiiilll.uses_vcc, 1
	.set _Z12ssm_scan_f32ILm128ELm16ELm2EEvPKfS1_S1_S1_S1_S1_PKiPfiiiiiiiiiiilll.uses_flat_scratch, 0
	.set _Z12ssm_scan_f32ILm128ELm16ELm2EEvPKfS1_S1_S1_S1_S1_PKiPfiiiiiiiiiiilll.has_dyn_sized_stack, 0
	.set _Z12ssm_scan_f32ILm128ELm16ELm2EEvPKfS1_S1_S1_S1_S1_PKiPfiiiiiiiiiiilll.has_recursion, 0
	.set _Z12ssm_scan_f32ILm128ELm16ELm2EEvPKfS1_S1_S1_S1_S1_PKiPfiiiiiiiiiiilll.has_indirect_call, 0
	.section	.AMDGPU.csdata,"",@progbits
; Kernel info:
; codeLenInByte = 5492
; TotalNumSgprs: 48
; NumVgprs: 67
; ScratchSize: 0
; MemoryBound: 0
; FloatMode: 240
; IeeeMode: 1
; LDSByteSize: 128 bytes/workgroup (compile time only)
; SGPRBlocks: 5
; VGPRBlocks: 16
; NumSGPRsForWavesPerEU: 48
; NumVGPRsForWavesPerEU: 67
; Occupancy: 3
; WaveLimiterHint : 1
; COMPUTE_PGM_RSRC2:SCRATCH_EN: 0
; COMPUTE_PGM_RSRC2:USER_SGPR: 6
; COMPUTE_PGM_RSRC2:TRAP_HANDLER: 0
; COMPUTE_PGM_RSRC2:TGID_X_EN: 1
; COMPUTE_PGM_RSRC2:TGID_Y_EN: 1
; COMPUTE_PGM_RSRC2:TGID_Z_EN: 0
; COMPUTE_PGM_RSRC2:TIDIG_COMP_CNT: 0
	.section	.text._Z12ssm_scan_f32ILm128ELm16ELm3EEvPKfS1_S1_S1_S1_S1_PKiPfiiiiiiiiiiilll,"axG",@progbits,_Z12ssm_scan_f32ILm128ELm16ELm3EEvPKfS1_S1_S1_S1_S1_PKiPfiiiiiiiiiiilll,comdat
	.protected	_Z12ssm_scan_f32ILm128ELm16ELm3EEvPKfS1_S1_S1_S1_S1_PKiPfiiiiiiiiiiilll ; -- Begin function _Z12ssm_scan_f32ILm128ELm16ELm3EEvPKfS1_S1_S1_S1_S1_PKiPfiiiiiiiiiiilll
	.globl	_Z12ssm_scan_f32ILm128ELm16ELm3EEvPKfS1_S1_S1_S1_S1_PKiPfiiiiiiiiiiilll
	.p2align	8
	.type	_Z12ssm_scan_f32ILm128ELm16ELm3EEvPKfS1_S1_S1_S1_S1_PKiPfiiiiiiiiiiilll,@function
_Z12ssm_scan_f32ILm128ELm16ELm3EEvPKfS1_S1_S1_S1_S1_PKiPfiiiiiiiiiiilll: ; @_Z12ssm_scan_f32ILm128ELm16ELm3EEvPKfS1_S1_S1_S1_S1_PKiPfiiiiiiiiiiilll
; %bb.0:
	s_load_dwordx16 s[8:23], s[4:5], 0x0
	s_load_dwordx8 s[24:31], s[4:5], 0x40
	s_mov_b32 s2, s7
	s_mov_b32 s7, 0
	s_lshl_b64 s[0:1], s[6:7], 2
	s_waitcnt lgkmcnt(0)
	s_add_u32 s0, s20, s0
	s_addc_u32 s1, s21, s1
	s_load_dword s0, s[0:1], 0x0
	v_mov_b32_e32 v2, 0
	s_load_dwordx4 s[40:43], s[4:5], 0x60
	s_waitcnt lgkmcnt(0)
	s_mul_i32 s0, s0, s25
	s_ashr_i32 s1, s0, 31
	s_add_u32 s0, s8, s0
	s_addc_u32 s1, s9, s1
	s_lshl_b32 s3, s2, 7
	s_ashr_i32 s8, s24, 31
	s_mul_i32 s8, s3, s8
	s_mul_hi_u32 s9, s3, s24
	s_add_i32 s8, s9, s8
	s_lshr_b32 s9, s2, 25
	s_mul_i32 s20, s9, s24
	s_add_i32 s33, s8, s20
	s_mul_i32 s34, s3, s24
	s_add_u32 s0, s0, s34
	s_addc_u32 s1, s1, s33
	s_ashr_i32 s8, s30, 31
	s_mul_i32 s8, s3, s8
	s_mul_hi_u32 s20, s3, s30
	s_add_i32 s8, s20, s8
	s_mul_i32 s9, s9, s30
	s_add_i32 s8, s8, s9
	s_mul_i32 s3, s3, s30
	s_add_u32 s3, s14, s3
	s_addc_u32 s8, s15, s8
	s_ashr_i32 s9, s30, 2
	v_mul_lo_u32 v1, s9, v0
	s_ashr_i32 s9, s24, 2
	v_mov_b32_e32 v5, s8
	v_lshlrev_b64 v[3:4], 2, v[1:2]
	v_mul_lo_u32 v1, s9, v0
	v_add_co_u32_e32 v35, vcc, s3, v3
	v_addc_co_u32_e32 v36, vcc, v5, v4, vcc
	v_lshlrev_b64 v[33:34], 2, v[1:2]
	v_mov_b32_e32 v1, s1
	v_add_co_u32_e32 v37, vcc, s0, v33
	v_addc_co_u32_e32 v38, vcc, v1, v34, vcc
	global_load_dwordx4 v[1:4], v[35:36], off offset:48
	global_load_dwordx4 v[5:8], v[35:36], off offset:32
	;; [unrolled: 1-line block ×3, first 2 shown]
	global_load_dwordx4 v[13:16], v[35:36], off
	global_load_dwordx4 v[17:20], v[37:38], off offset:48
	global_load_dwordx4 v[21:24], v[37:38], off offset:32
	;; [unrolled: 1-line block ×3, first 2 shown]
	global_load_dwordx4 v[29:32], v[37:38], off
	s_mul_i32 s0, s40, s6
	s_add_u32 s0, s16, s0
	s_mov_b32 s3, s7
	s_mul_i32 s1, s42, s6
	s_addc_u32 s7, s17, 0
	v_cmp_gt_u32_e32 vcc, 16, v0
	v_lshlrev_b32_e32 v0, 2, v0
	s_add_u32 s8, s18, s1
	v_mov_b32_e32 v35, s7
	v_add_co_u32_e64 v37, s[0:1], s0, v0
	s_addc_u32 s9, s19, 0
	v_addc_co_u32_e64 v38, s[0:1], 0, v35, s[0:1]
	v_mov_b32_e32 v36, s9
	v_add_co_u32_e64 v35, s[0:1], s8, v0
	v_addc_co_u32_e64 v36, s[0:1], 0, v36, s[0:1]
	v_add_u32_e32 v39, 64, v0
	s_and_saveexec_b64 s[0:1], vcc
	s_cbranch_execz .LBB4_2
; %bb.1:
	global_load_dword v40, v[37:38], off
	global_load_dword v41, v[35:36], off
	s_waitcnt vmcnt(1)
	ds_write_b32 v0, v40
	s_waitcnt vmcnt(0)
	ds_write_b32 v39, v41
.LBB4_2:
	s_or_b64 exec, exec, s[0:1]
	s_lshl_b64 s[20:21], s[2:3], 9
	s_mul_i32 s0, s29, s6
	s_add_u32 s0, s12, s0
	s_addc_u32 s1, s13, 0
	s_add_u32 s0, s0, s20
	s_addc_u32 s1, s1, s21
	s_waitcnt vmcnt(0) lgkmcnt(0)
	s_barrier
	global_load_dword v40, v0, s[0:1]
	v_mov_b32_e32 v41, s1
	v_add_co_u32_e64 v47, s[0:1], s0, v0
	v_addc_co_u32_e64 v48, s[0:1], 0, v41, s[0:1]
	s_mov_b32 s0, 0x41a00000
	s_waitcnt vmcnt(0)
	v_cmp_ge_f32_e64 s[0:1], s0, v40
	s_and_saveexec_b64 s[2:3], s[0:1]
	s_cbranch_execz .LBB4_4
; %bb.3:
	v_mul_f32_e32 v41, 0x3fb8aa3b, v40
	s_mov_b32 s0, 0x3fb8aa3b
	v_rndne_f32_e32 v42, v41
	v_sub_f32_e32 v43, v41, v42
	v_fma_f32 v41, v40, s0, -v41
	v_fmac_f32_e32 v41, 0x32a5705f, v40
	v_add_f32_e32 v41, v43, v41
	v_exp_f32_e32 v41, v41
	v_cvt_i32_f32_e32 v42, v42
	s_mov_b32 s0, 0xc2ce8ed0
	v_cmp_ngt_f32_e64 s[0:1], s0, v40
	s_mov_b32 s7, 0x7f800000
	v_ldexp_f32 v41, v41, v42
	v_cndmask_b32_e64 v41, 0, v41, s[0:1]
	s_mov_b32 s0, 0x42b17218
	v_mov_b32_e32 v42, 0x7f800000
	v_cmp_nlt_f32_e64 s[0:1], s0, v40
	v_cndmask_b32_e64 v43, v42, v41, s[0:1]
	v_add_f32_e32 v44, 1.0, v43
	v_cvt_f64_f32_e32 v[40:41], v44
	v_add_f32_e32 v45, -1.0, v44
	v_sub_f32_e32 v46, v45, v44
	v_sub_f32_e32 v45, v43, v45
	v_frexp_exp_i32_f64_e32 v40, v[40:41]
	v_add_f32_e32 v41, 1.0, v46
	v_add_f32_e32 v41, v45, v41
	v_frexp_mant_f32_e32 v45, v44
	s_mov_b32 s0, 0x3f2aaaab
	v_cmp_gt_f32_e64 s[0:1], s0, v45
	v_subbrev_co_u32_e64 v40, s[0:1], 0, v40, s[0:1]
	v_sub_u32_e32 v45, 0, v40
	v_ldexp_f32 v44, v44, v45
	v_ldexp_f32 v41, v41, v45
	v_add_f32_e32 v45, -1.0, v44
	v_add_f32_e32 v50, 1.0, v44
	v_add_f32_e32 v46, 1.0, v45
	v_add_f32_e32 v51, -1.0, v50
	v_sub_f32_e32 v46, v44, v46
	v_sub_f32_e32 v44, v44, v51
	v_add_f32_e32 v46, v41, v46
	v_add_f32_e32 v41, v41, v44
	;; [unrolled: 1-line block ×3, first 2 shown]
	v_rcp_f32_e32 v51, v44
	v_add_f32_e32 v49, v45, v46
	v_sub_f32_e32 v45, v45, v49
	v_add_f32_e32 v45, v46, v45
	v_sub_f32_e32 v46, v50, v44
	v_add_f32_e32 v41, v41, v46
	v_mul_f32_e32 v46, v49, v51
	v_mul_f32_e32 v50, v44, v46
	v_fma_f32 v52, v46, v44, -v50
	v_fmac_f32_e32 v52, v46, v41
	v_add_f32_e32 v53, v50, v52
	v_sub_f32_e32 v54, v49, v53
	v_sub_f32_e32 v49, v49, v54
	;; [unrolled: 1-line block ×4, first 2 shown]
	v_add_f32_e32 v45, v45, v49
	v_sub_f32_e32 v49, v50, v52
	v_add_f32_e32 v45, v49, v45
	v_add_f32_e32 v49, v54, v45
	v_mul_f32_e32 v50, v51, v49
	v_mul_f32_e32 v52, v44, v50
	v_fma_f32 v44, v50, v44, -v52
	v_fmac_f32_e32 v44, v50, v41
	v_sub_f32_e32 v41, v54, v49
	v_add_f32_e32 v41, v45, v41
	v_add_f32_e32 v45, v52, v44
	v_sub_f32_e32 v53, v49, v45
	v_sub_f32_e32 v49, v49, v53
	;; [unrolled: 1-line block ×4, first 2 shown]
	v_add_f32_e32 v41, v41, v45
	v_sub_f32_e32 v44, v52, v44
	v_add_f32_e32 v41, v44, v41
	v_add_f32_e32 v44, v46, v50
	;; [unrolled: 1-line block ×3, first 2 shown]
	v_sub_f32_e32 v45, v44, v46
	v_mul_f32_e32 v41, v51, v41
	v_sub_f32_e32 v45, v50, v45
	v_add_f32_e32 v41, v45, v41
	v_cvt_f32_i32_e32 v40, v40
	v_add_f32_e32 v45, v44, v41
	v_mul_f32_e32 v46, v45, v45
	v_mov_b32_e32 v49, 0x3ecc95a3
	v_fmac_f32_e32 v49, 0x3e9b6dac, v46
	v_mov_b32_e32 v50, 0x3f2aaada
	v_fmac_f32_e32 v50, v46, v49
	s_mov_b32 s0, 0x3f317218
	v_mul_f32_e32 v49, 0x3f317218, v40
	v_fma_f32 v51, v40, s0, -v49
	v_fmac_f32_e32 v51, 0xb102e308, v40
	v_sub_f32_e32 v40, v45, v44
	v_sub_f32_e32 v40, v41, v40
	v_add_f32_e32 v41, v49, v51
	v_sub_f32_e32 v44, v41, v49
	v_ldexp_f32 v49, v45, 1
	v_mul_f32_e32 v45, v45, v46
	v_mul_f32_e32 v45, v45, v50
	v_add_f32_e32 v46, v49, v45
	v_sub_f32_e32 v49, v46, v49
	v_ldexp_f32 v40, v40, 1
	v_sub_f32_e32 v45, v45, v49
	v_add_f32_e32 v40, v40, v45
	v_add_f32_e32 v45, v46, v40
	v_sub_f32_e32 v46, v45, v46
	v_sub_f32_e32 v40, v40, v46
	v_add_f32_e32 v46, v41, v45
	v_sub_f32_e32 v49, v46, v41
	v_sub_f32_e32 v50, v46, v49
	;; [unrolled: 1-line block ×5, first 2 shown]
	v_add_f32_e32 v41, v45, v41
	v_add_f32_e32 v45, v44, v40
	v_sub_f32_e32 v49, v45, v44
	v_sub_f32_e32 v50, v45, v49
	v_sub_f32_e32 v44, v44, v50
	v_sub_f32_e32 v40, v40, v49
	v_add_f32_e32 v41, v45, v41
	v_add_f32_e32 v40, v40, v44
	;; [unrolled: 1-line block ×3, first 2 shown]
	v_sub_f32_e32 v45, v44, v46
	v_sub_f32_e32 v41, v41, v45
	v_add_f32_e32 v40, v40, v41
	v_add_f32_e32 v40, v44, v40
	v_cmp_neq_f32_e64 s[0:1], s7, v43
	v_cndmask_b32_e64 v40, v42, v40, s[0:1]
	s_mov_b32 s0, 0x33800000
	v_cmp_gt_f32_e64 s[0:1], s0, v43
	v_cndmask_b32_e64 v40, v40, v43, s[0:1]
.LBB4_4:
	s_or_b64 exec, exec, s[2:3]
	s_load_dwordx4 s[36:39], s[4:5], 0x70
	s_mul_i32 s0, s27, s6
	v_mul_f32_e32 v49, v40, v13
	s_mov_b32 s27, 0x3fb8aa3b
	v_mul_f32_e32 v51, v40, v15
	s_waitcnt lgkmcnt(0)
	s_mul_i32 s1, s6, s39
	s_mul_hi_u32 s2, s6, s38
	s_mul_i32 s3, s6, s38
	s_add_i32 s1, s2, s1
	s_mul_hi_u32 s2, s3, 12
	s_mul_i32 s1, s1, 12
	s_add_i32 s2, s2, s1
	s_mul_i32 s3, s3, 12
	s_add_u32 s29, s22, s3
	s_addc_u32 s19, s23, s2
	s_ashr_i32 s18, s31, 2
	s_add_u32 s0, s10, s0
	s_addc_u32 s1, s11, 0
	s_add_u32 s30, s0, s20
	s_addc_u32 s31, s1, s21
	global_load_dword v46, v0, s[30:31]
	v_mul_f32_e32 v53, 0x3fb8aa3b, v49
	s_mov_b32 s7, 0xc2ce8ed0
	s_mov_b32 s24, 0x42b17218
	v_mul_f32_e32 v50, v40, v14
	v_mul_f32_e32 v52, v40, v16
	;; [unrolled: 1-line block ×3, first 2 shown]
	v_fma_f32 v58, v49, s27, -v53
	v_mul_f32_e32 v55, 0x3fb8aa3b, v50
	v_mul_f32_e32 v57, 0x3fb8aa3b, v52
	v_cmp_ngt_f32_e64 s[16:17], s7, v49
	v_cmp_nlt_f32_e64 s[10:11], s24, v49
	v_fmac_f32_e32 v58, 0x32a5705f, v49
	v_fma_f32 v49, v51, s27, -v56
	v_cmp_ngt_f32_e64 s[12:13], s7, v51
	v_cmp_nlt_f32_e64 s[4:5], s24, v51
	v_rndne_f32_e32 v62, v53
	v_fma_f32 v59, v50, s27, -v55
	v_rndne_f32_e32 v63, v55
	v_fmac_f32_e32 v49, 0x32a5705f, v51
	v_fma_f32 v51, v52, s27, -v57
	v_cmp_ngt_f32_e64 s[14:15], s7, v50
	v_cmp_nlt_f32_e64 s[8:9], s24, v50
	v_cmp_ngt_f32_e64 s[2:3], s7, v52
	v_cmp_nlt_f32_e64 s[0:1], s24, v52
	v_fmac_f32_e32 v59, 0x32a5705f, v50
	v_rndne_f32_e32 v50, v56
	v_fmac_f32_e32 v51, 0x32a5705f, v52
	v_rndne_f32_e32 v52, v57
	v_sub_f32_e32 v53, v53, v62
	v_sub_f32_e32 v55, v55, v63
	v_mov_b32_e32 v54, 0
	v_sub_f32_e32 v56, v56, v50
	v_sub_f32_e32 v57, v57, v52
	v_add_f32_e32 v53, v53, v58
	v_add_f32_e32 v55, v55, v59
	ds_read_b128 v[41:44], v54
	ds_read_b128 v[58:61], v54 offset:16
	v_add_f32_e32 v49, v56, v49
	v_add_f32_e32 v51, v57, v51
	v_cvt_i32_f32_e32 v56, v62
	v_cvt_i32_f32_e32 v57, v63
	v_exp_f32_e32 v53, v53
	v_exp_f32_e32 v55, v55
	v_cvt_i32_f32_e32 v50, v50
	v_cvt_i32_f32_e32 v52, v52
	v_exp_f32_e32 v49, v49
	v_exp_f32_e32 v51, v51
	v_ldexp_f32 v53, v53, v56
	v_ldexp_f32 v56, v55, v57
	v_mov_b32_e32 v45, 0x7f800000
	v_ldexp_f32 v57, v49, v50
	v_ldexp_f32 v66, v51, v52
	ds_read_b128 v[62:65], v54 offset:64
	s_waitcnt vmcnt(0)
	v_mul_f32_e32 v55, v40, v46
	s_waitcnt lgkmcnt(2)
	v_mul_f32_e32 v51, v55, v41
	v_cndmask_b32_e64 v41, 0, v53, s[16:17]
	v_mul_f32_e32 v50, v55, v43
	v_mul_f32_e32 v43, v55, v44
	v_cndmask_b32_e64 v44, 0, v57, s[12:13]
	v_cndmask_b32_e64 v41, v45, v41, s[10:11]
	;; [unrolled: 1-line block ×3, first 2 shown]
	v_fmac_f32_e32 v51, v29, v41
	v_add_co_u32_e64 v52, s[4:5], s30, v0
	v_mov_b32_e32 v29, s31
	v_addc_co_u32_e64 v53, s[4:5], 0, v29, s[4:5]
	v_cndmask_b32_e64 v29, 0, v66, s[2:3]
	v_mul_f32_e32 v49, v55, v42
	v_cndmask_b32_e64 v42, 0, v56, s[14:15]
	v_cndmask_b32_e64 v29, v45, v29, s[0:1]
	;; [unrolled: 1-line block ×3, first 2 shown]
	v_fmac_f32_e32 v43, v32, v29
	v_mul_f32_e32 v29, v40, v9
	v_fmac_f32_e32 v49, v30, v42
	v_mul_f32_e32 v30, 0x3fb8aa3b, v29
	v_fmac_f32_e32 v50, v31, v44
	v_fma_f32 v31, v29, s27, -v30
	v_rndne_f32_e32 v32, v30
	v_fmac_f32_e32 v31, 0x32a5705f, v29
	v_sub_f32_e32 v30, v30, v32
	v_add_f32_e32 v30, v30, v31
	v_exp_f32_e32 v30, v30
	v_cvt_i32_f32_e32 v31, v32
	v_cmp_ngt_f32_e64 s[0:1], s7, v29
	s_waitcnt lgkmcnt(1)
	v_mul_f32_e32 v44, v55, v58
	v_mul_f32_e32 v46, v55, v59
	v_ldexp_f32 v30, v30, v31
	v_mul_f32_e32 v31, v40, v10
	v_mul_f32_e32 v32, 0x3fb8aa3b, v31
	v_fma_f32 v41, v31, s27, -v32
	v_rndne_f32_e32 v42, v32
	v_fmac_f32_e32 v41, 0x32a5705f, v31
	v_sub_f32_e32 v32, v32, v42
	v_add_f32_e32 v32, v32, v41
	v_cndmask_b32_e64 v30, 0, v30, s[0:1]
	v_exp_f32_e32 v32, v32
	v_cvt_i32_f32_e32 v41, v42
	v_cmp_nlt_f32_e64 s[0:1], s24, v29
	v_cndmask_b32_e64 v29, v45, v30, s[0:1]
	v_fmac_f32_e32 v44, v25, v29
	v_mul_f32_e32 v29, v40, v11
	v_mul_f32_e32 v30, 0x3fb8aa3b, v29
	v_ldexp_f32 v25, v32, v41
	v_fma_f32 v32, v29, s27, -v30
	v_rndne_f32_e32 v41, v30
	v_fmac_f32_e32 v32, 0x32a5705f, v29
	v_sub_f32_e32 v30, v30, v41
	v_add_f32_e32 v30, v30, v32
	v_cmp_ngt_f32_e64 s[0:1], s7, v31
	v_exp_f32_e32 v30, v30
	v_cvt_i32_f32_e32 v32, v41
	v_cndmask_b32_e64 v25, 0, v25, s[0:1]
	v_cmp_nlt_f32_e64 s[0:1], s24, v31
	v_cndmask_b32_e64 v25, v45, v25, s[0:1]
	v_fmac_f32_e32 v46, v26, v25
	v_mul_f32_e32 v26, v40, v12
	v_ldexp_f32 v25, v30, v32
	v_mul_f32_e32 v30, 0x3fb8aa3b, v26
	v_fma_f32 v31, v26, s27, -v30
	v_rndne_f32_e32 v32, v30
	v_fmac_f32_e32 v31, 0x32a5705f, v26
	v_sub_f32_e32 v30, v30, v32
	v_add_f32_e32 v30, v30, v31
	v_cmp_ngt_f32_e64 s[0:1], s7, v29
	v_exp_f32_e32 v30, v30
	v_cvt_i32_f32_e32 v31, v32
	v_cndmask_b32_e64 v25, 0, v25, s[0:1]
	v_cmp_nlt_f32_e64 s[0:1], s24, v29
	v_cndmask_b32_e64 v25, v45, v25, s[0:1]
	v_mul_f32_e32 v32, v55, v60
	v_cmp_ngt_f32_e64 s[0:1], s7, v26
	v_cmp_nlt_f32_e64 s[2:3], s24, v26
	v_mul_f32_e32 v26, v40, v5
	v_fmac_f32_e32 v32, v27, v25
	v_mul_f32_e32 v27, 0x3fb8aa3b, v26
	v_ldexp_f32 v25, v30, v31
	v_fma_f32 v29, v26, s27, -v27
	v_rndne_f32_e32 v30, v27
	v_fmac_f32_e32 v29, 0x32a5705f, v26
	v_sub_f32_e32 v27, v27, v30
	v_add_f32_e32 v27, v27, v29
	v_exp_f32_e32 v27, v27
	v_cvt_i32_f32_e32 v29, v30
	v_cndmask_b32_e64 v25, 0, v25, s[0:1]
	v_mul_f32_e32 v31, v55, v61
	v_cndmask_b32_e64 v25, v45, v25, s[2:3]
	v_fmac_f32_e32 v31, v28, v25
	v_ldexp_f32 v25, v27, v29
	v_mul_f32_e32 v27, v40, v6
	ds_read_b128 v[58:61], v54 offset:32
	v_mul_f32_e32 v28, 0x3fb8aa3b, v27
	v_fma_f32 v29, v27, s27, -v28
	v_rndne_f32_e32 v30, v28
	v_fmac_f32_e32 v29, 0x32a5705f, v27
	v_sub_f32_e32 v28, v28, v30
	v_cmp_ngt_f32_e64 s[0:1], s7, v26
	v_add_f32_e32 v28, v28, v29
	v_cndmask_b32_e64 v25, 0, v25, s[0:1]
	v_exp_f32_e32 v28, v28
	v_cvt_i32_f32_e32 v30, v30
	v_cmp_nlt_f32_e64 s[0:1], s24, v26
	v_cndmask_b32_e64 v25, v45, v25, s[0:1]
	s_waitcnt lgkmcnt(0)
	v_mul_f32_e32 v29, v55, v58
	v_fmac_f32_e32 v29, v21, v25
	v_mul_f32_e32 v25, v40, v7
	v_mul_f32_e32 v26, 0x3fb8aa3b, v25
	v_ldexp_f32 v21, v28, v30
	v_fma_f32 v28, v25, s27, -v26
	v_rndne_f32_e32 v30, v26
	v_fmac_f32_e32 v28, 0x32a5705f, v25
	v_sub_f32_e32 v26, v26, v30
	v_cmp_ngt_f32_e64 s[0:1], s7, v27
	v_add_f32_e32 v26, v26, v28
	v_cndmask_b32_e64 v21, 0, v21, s[0:1]
	v_exp_f32_e32 v26, v26
	v_cvt_i32_f32_e32 v28, v30
	v_cmp_nlt_f32_e64 s[0:1], s24, v27
	v_cndmask_b32_e64 v21, v45, v21, s[0:1]
	v_mul_f32_e32 v30, v55, v59
	v_fmac_f32_e32 v30, v22, v21
	v_mul_f32_e32 v22, v40, v8
	v_cmp_ngt_f32_e64 s[0:1], s7, v25
	v_cmp_nlt_f32_e64 s[2:3], s24, v25
	v_mul_f32_e32 v25, 0x3fb8aa3b, v22
	v_ldexp_f32 v21, v26, v28
	v_fma_f32 v26, v22, s27, -v25
	v_rndne_f32_e32 v27, v25
	v_fmac_f32_e32 v26, 0x32a5705f, v22
	v_sub_f32_e32 v25, v25, v27
	v_add_f32_e32 v26, v25, v26
	v_exp_f32_e32 v26, v26
	v_cvt_i32_f32_e32 v27, v27
	v_cndmask_b32_e64 v21, 0, v21, s[0:1]
	v_mul_f32_e32 v28, v55, v60
	v_cndmask_b32_e64 v21, v45, v21, s[2:3]
	v_fmac_f32_e32 v28, v23, v21
	v_ldexp_f32 v21, v26, v27
	v_mul_f32_e32 v26, v40, v1
	v_mul_f32_e32 v27, 0x3fb8aa3b, v26
	v_fma_f32 v41, v26, s27, -v27
	v_rndne_f32_e32 v42, v27
	v_fmac_f32_e32 v41, 0x32a5705f, v26
	v_sub_f32_e32 v27, v27, v42
	v_add_f32_e32 v27, v27, v41
	v_exp_f32_e32 v27, v27
	v_cvt_i32_f32_e32 v41, v42
	v_mul_f32_e32 v25, v55, v61
	ds_read_b128 v[58:61], v54 offset:80
	v_cmp_ngt_f32_e64 s[0:1], s7, v22
	v_fma_f32 v57, v62, v51, 0
	v_cndmask_b32_e64 v21, 0, v21, s[0:1]
	v_cmp_nlt_f32_e64 s[0:1], s24, v22
	v_fmac_f32_e32 v57, v63, v49
	v_cndmask_b32_e64 v21, v45, v21, s[0:1]
	v_ldexp_f32 v27, v27, v41
	v_cmp_ngt_f32_e64 s[0:1], s7, v26
	v_fmac_f32_e32 v57, v64, v50
	v_cndmask_b32_e64 v27, 0, v27, s[0:1]
	v_cmp_nlt_f32_e64 s[0:1], s24, v26
	v_mul_f32_e32 v26, v40, v2
	v_fmac_f32_e32 v57, v65, v43
	v_mul_f32_e32 v41, 0x3fb8aa3b, v26
	s_waitcnt lgkmcnt(0)
	v_fmac_f32_e32 v57, v58, v44
	v_fma_f32 v42, v26, s27, -v41
	v_rndne_f32_e32 v58, v41
	v_fmac_f32_e32 v42, 0x32a5705f, v26
	v_sub_f32_e32 v41, v41, v58
	v_fmac_f32_e32 v25, v24, v21
	ds_read_b128 v[21:24], v54 offset:48
	ds_read_b128 v[62:65], v54 offset:96
	v_add_f32_e32 v41, v41, v42
	v_exp_f32_e32 v41, v41
	v_cvt_i32_f32_e32 v58, v58
	v_cndmask_b32_e64 v27, v45, v27, s[0:1]
	s_waitcnt lgkmcnt(1)
	v_mul_f32_e32 v42, v55, v21
	v_fmac_f32_e32 v42, v17, v27
	v_ldexp_f32 v17, v41, v58
	v_cmp_ngt_f32_e64 s[0:1], s7, v26
	v_mul_f32_e32 v21, v40, v3
	v_cndmask_b32_e64 v17, 0, v17, s[0:1]
	v_cmp_nlt_f32_e64 s[0:1], s24, v26
	v_mul_f32_e32 v26, 0x3fb8aa3b, v21
	v_fma_f32 v27, v21, s27, -v26
	v_rndne_f32_e32 v41, v26
	v_fmac_f32_e32 v27, 0x32a5705f, v21
	v_sub_f32_e32 v26, v26, v41
	v_add_f32_e32 v26, v26, v27
	v_exp_f32_e32 v26, v26
	v_cvt_i32_f32_e32 v27, v41
	v_cndmask_b32_e64 v17, v45, v17, s[0:1]
	v_mul_f32_e32 v41, v55, v22
	v_fmac_f32_e32 v41, v18, v17
	v_ldexp_f32 v17, v26, v27
	v_cmp_ngt_f32_e64 s[0:1], s7, v21
	v_mul_f32_e32 v18, v40, v4
	v_cndmask_b32_e64 v17, 0, v17, s[0:1]
	v_cmp_nlt_f32_e64 s[0:1], s24, v21
	v_mul_f32_e32 v21, 0x3fb8aa3b, v18
	v_fma_f32 v22, v18, s27, -v21
	v_rndne_f32_e32 v26, v21
	v_fmac_f32_e32 v22, 0x32a5705f, v18
	v_sub_f32_e32 v21, v21, v26
	v_add_f32_e32 v21, v21, v22
	v_fmac_f32_e32 v57, v59, v46
	v_exp_f32_e32 v21, v21
	v_cvt_i32_f32_e32 v22, v26
	v_fmac_f32_e32 v57, v60, v32
	s_add_u32 s8, s29, s20
	v_fmac_f32_e32 v57, v61, v31
	ds_read_b128 v[58:61], v54 offset:112
	s_addc_u32 s9, s19, s21
	s_waitcnt lgkmcnt(1)
	v_fmac_f32_e32 v57, v62, v29
	v_cndmask_b32_e64 v17, v45, v17, s[0:1]
	v_mul_f32_e32 v40, v55, v23
	v_mov_b32_e32 v56, s9
	v_fmac_f32_e32 v57, v63, v30
	v_fmac_f32_e32 v40, v19, v17
	v_ldexp_f32 v17, v21, v22
	v_add_co_u32_e64 v21, s[0:1], s8, v0
	v_fmac_f32_e32 v57, v64, v28
	v_addc_co_u32_e64 v22, s[0:1], 0, v56, s[0:1]
	v_fmac_f32_e32 v57, v65, v25
	v_cmp_ngt_f32_e64 s[0:1], s7, v18
	s_waitcnt lgkmcnt(0)
	v_fmac_f32_e32 v57, v58, v42
	v_cndmask_b32_e64 v17, 0, v17, s[0:1]
	v_cmp_nlt_f32_e64 s[0:1], s24, v18
	v_fmac_f32_e32 v57, v59, v41
	v_cndmask_b32_e64 v17, v45, v17, s[0:1]
	v_mul_f32_e32 v45, v55, v24
	s_ashr_i32 s14, s41, 2
	v_fmac_f32_e32 v57, v60, v40
	v_fmac_f32_e32 v45, v20, v17
	s_ashr_i32 s19, s18, 31
	s_ashr_i32 s15, s14, 31
	v_fmac_f32_e32 v57, v61, v45
	global_store_dword v0, v57, s[8:9]
	s_waitcnt vmcnt(0)
	s_barrier
	s_and_saveexec_b64 s[2:3], vcc
	s_cbranch_execz .LBB4_6
; %bb.5:
	s_lshl_b64 s[0:1], s[18:19], 2
	v_mov_b32_e32 v18, s1
	v_add_co_u32_e64 v17, s[0:1], s0, v37
	v_addc_co_u32_e64 v18, s[0:1], v38, v18, s[0:1]
	s_lshl_b64 s[0:1], s[14:15], 2
	global_load_dword v19, v[17:18], off
	v_mov_b32_e32 v18, s1
	v_add_co_u32_e64 v17, s[0:1], s0, v35
	v_addc_co_u32_e64 v18, s[0:1], v36, v18, s[0:1]
	global_load_dword v17, v[17:18], off
	s_waitcnt vmcnt(1)
	ds_write_b32 v0, v19
	s_waitcnt vmcnt(0)
	ds_write_b32 v39, v17
.LBB4_6:
	s_or_b64 exec, exec, s[2:3]
	s_ashr_i32 s0, s28, 2
	s_ashr_i32 s1, s0, 31
	s_lshl_b64 s[20:21], s[0:1], 2
	v_mov_b32_e32 v18, s21
	v_add_co_u32_e64 v17, s[0:1], s20, v47
	v_addc_co_u32_e64 v18, s[0:1], v48, v18, s[0:1]
	s_waitcnt lgkmcnt(0)
	s_barrier
	global_load_dword v48, v[17:18], off
	s_mov_b32 s0, 0x41a00000
	s_waitcnt vmcnt(0)
	v_cmp_ge_f32_e64 s[0:1], s0, v48
	s_and_saveexec_b64 s[2:3], s[0:1]
	s_cbranch_execz .LBB4_8
; %bb.7:
	v_mul_f32_e32 v19, 0x3fb8aa3b, v48
	s_mov_b32 s0, 0x3fb8aa3b
	v_rndne_f32_e32 v20, v19
	v_sub_f32_e32 v23, v19, v20
	v_fma_f32 v19, v48, s0, -v19
	v_fmac_f32_e32 v19, 0x32a5705f, v48
	v_add_f32_e32 v19, v23, v19
	v_exp_f32_e32 v19, v19
	v_cvt_i32_f32_e32 v20, v20
	s_mov_b32 s0, 0xc2ce8ed0
	v_cmp_ngt_f32_e64 s[0:1], s0, v48
	v_mov_b32_e32 v23, 0x7f800000
	v_ldexp_f32 v19, v19, v20
	v_cndmask_b32_e64 v19, 0, v19, s[0:1]
	s_mov_b32 s0, 0x42b17218
	v_cmp_nlt_f32_e64 s[0:1], s0, v48
	v_cndmask_b32_e64 v24, v23, v19, s[0:1]
	v_add_f32_e32 v26, 1.0, v24
	v_cvt_f64_f32_e32 v[19:20], v26
	v_add_f32_e32 v27, -1.0, v26
	v_sub_f32_e32 v47, v27, v26
	v_sub_f32_e32 v27, v24, v27
	v_frexp_exp_i32_f64_e32 v19, v[19:20]
	v_add_f32_e32 v20, 1.0, v47
	v_add_f32_e32 v20, v27, v20
	v_frexp_mant_f32_e32 v27, v26
	s_mov_b32 s0, 0x3f2aaaab
	v_cmp_gt_f32_e64 s[0:1], s0, v27
	s_mov_b32 s4, 0x7f800000
	v_subbrev_co_u32_e64 v19, s[0:1], 0, v19, s[0:1]
	v_sub_u32_e32 v27, 0, v19
	v_ldexp_f32 v26, v26, v27
	v_ldexp_f32 v20, v20, v27
	v_add_f32_e32 v27, -1.0, v26
	v_add_f32_e32 v54, 1.0, v26
	v_add_f32_e32 v47, 1.0, v27
	v_add_f32_e32 v55, -1.0, v54
	v_sub_f32_e32 v47, v26, v47
	v_sub_f32_e32 v26, v26, v55
	v_add_f32_e32 v47, v20, v47
	v_add_f32_e32 v20, v20, v26
	;; [unrolled: 1-line block ×3, first 2 shown]
	v_rcp_f32_e32 v55, v26
	v_add_f32_e32 v48, v27, v47
	v_sub_f32_e32 v27, v27, v48
	v_add_f32_e32 v27, v47, v27
	v_sub_f32_e32 v47, v54, v26
	v_add_f32_e32 v20, v20, v47
	v_mul_f32_e32 v47, v48, v55
	v_mul_f32_e32 v54, v26, v47
	v_fma_f32 v56, v47, v26, -v54
	v_fmac_f32_e32 v56, v47, v20
	v_add_f32_e32 v57, v54, v56
	v_sub_f32_e32 v58, v48, v57
	v_sub_f32_e32 v48, v48, v58
	;; [unrolled: 1-line block ×4, first 2 shown]
	v_add_f32_e32 v27, v27, v48
	v_sub_f32_e32 v48, v54, v56
	v_add_f32_e32 v27, v48, v27
	v_add_f32_e32 v48, v58, v27
	v_mul_f32_e32 v54, v55, v48
	v_mul_f32_e32 v56, v26, v54
	v_fma_f32 v26, v54, v26, -v56
	v_fmac_f32_e32 v26, v54, v20
	v_sub_f32_e32 v20, v58, v48
	v_add_f32_e32 v20, v27, v20
	v_add_f32_e32 v27, v56, v26
	v_sub_f32_e32 v57, v48, v27
	v_sub_f32_e32 v48, v48, v57
	;; [unrolled: 1-line block ×4, first 2 shown]
	v_add_f32_e32 v20, v20, v27
	v_sub_f32_e32 v26, v56, v26
	v_add_f32_e32 v20, v26, v20
	v_add_f32_e32 v26, v47, v54
	;; [unrolled: 1-line block ×3, first 2 shown]
	v_sub_f32_e32 v27, v26, v47
	v_mul_f32_e32 v20, v55, v20
	v_sub_f32_e32 v27, v54, v27
	v_add_f32_e32 v20, v27, v20
	v_cvt_f32_i32_e32 v19, v19
	v_add_f32_e32 v27, v26, v20
	v_mul_f32_e32 v47, v27, v27
	v_mov_b32_e32 v48, 0x3ecc95a3
	v_fmac_f32_e32 v48, 0x3e9b6dac, v47
	v_mov_b32_e32 v54, 0x3f2aaada
	v_fmac_f32_e32 v54, v47, v48
	s_mov_b32 s0, 0x3f317218
	v_mul_f32_e32 v48, 0x3f317218, v19
	v_fma_f32 v55, v19, s0, -v48
	v_fmac_f32_e32 v55, 0xb102e308, v19
	v_sub_f32_e32 v19, v27, v26
	v_sub_f32_e32 v19, v20, v19
	v_add_f32_e32 v20, v48, v55
	v_sub_f32_e32 v26, v20, v48
	v_ldexp_f32 v48, v27, 1
	v_mul_f32_e32 v27, v27, v47
	v_mul_f32_e32 v27, v27, v54
	v_add_f32_e32 v47, v48, v27
	v_sub_f32_e32 v48, v47, v48
	v_ldexp_f32 v19, v19, 1
	v_sub_f32_e32 v27, v27, v48
	v_add_f32_e32 v19, v19, v27
	v_add_f32_e32 v27, v47, v19
	v_sub_f32_e32 v47, v27, v47
	v_sub_f32_e32 v19, v19, v47
	v_add_f32_e32 v47, v20, v27
	v_sub_f32_e32 v48, v47, v20
	v_sub_f32_e32 v54, v47, v48
	;; [unrolled: 1-line block ×5, first 2 shown]
	v_add_f32_e32 v20, v27, v20
	v_add_f32_e32 v27, v26, v19
	v_sub_f32_e32 v48, v27, v26
	v_sub_f32_e32 v54, v27, v48
	;; [unrolled: 1-line block ×4, first 2 shown]
	v_add_f32_e32 v20, v27, v20
	v_add_f32_e32 v19, v19, v26
	v_add_f32_e32 v26, v47, v20
	v_sub_f32_e32 v27, v26, v47
	v_sub_f32_e32 v20, v20, v27
	v_add_f32_e32 v19, v19, v20
	v_add_f32_e32 v19, v26, v19
	v_cmp_neq_f32_e64 s[0:1], s4, v24
	v_cndmask_b32_e64 v19, v23, v19, s[0:1]
	s_mov_b32 s0, 0x33800000
	v_cmp_gt_f32_e64 s[0:1], s0, v24
	v_cndmask_b32_e64 v48, v19, v24, s[0:1]
.LBB4_8:
	s_or_b64 exec, exec, s[2:3]
	s_ashr_i32 s0, s26, 2
	s_ashr_i32 s1, s0, 31
	s_lshl_b64 s[26:27], s[0:1], 2
	v_add_co_u32_e64 v19, s[0:1], s26, v52
	v_mov_b32_e32 v20, s27
	v_addc_co_u32_e64 v20, s[0:1], v53, v20, s[0:1]
	global_load_dword v23, v[19:20], off
	v_mov_b32_e32 v53, 0
	ds_read_b128 v[54:57], v53
	v_mul_f32_e32 v47, v48, v13
	s_mov_b32 s7, 0x3fb8aa3b
	v_mul_f32_e32 v58, v48, v14
	v_mul_f32_e32 v60, 0x3fb8aa3b, v47
	s_mov_b32 s24, 0xc2ce8ed0
	s_mov_b32 s28, 0x42b17218
	v_mul_f32_e32 v59, v48, v15
	v_mul_f32_e32 v61, 0x3fb8aa3b, v58
	v_cmp_ngt_f32_e64 s[2:3], s24, v47
	v_cmp_nlt_f32_e64 s[4:5], s28, v47
	v_mul_f32_e32 v62, 0x3fb8aa3b, v59
	v_cmp_ngt_f32_e64 s[8:9], s24, v58
	v_cmp_nlt_f32_e64 s[0:1], s28, v58
	v_cmp_ngt_f32_e64 s[12:13], s24, v59
	v_cmp_nlt_f32_e64 s[10:11], s28, v59
	v_mul_f32_e32 v63, v48, v16
	v_mul_f32_e32 v66, v48, v9
	s_mov_b32 s16, 0
	s_mov_b32 s17, s38
	s_waitcnt vmcnt(0)
	v_mul_f32_e32 v52, v48, v23
	s_waitcnt lgkmcnt(0)
	v_mul_f32_e32 v24, v52, v55
	v_fma_f32 v55, v47, s7, -v60
	v_fmac_f32_e32 v55, 0x32a5705f, v47
	v_fma_f32 v47, v58, s7, -v61
	v_mul_f32_e32 v26, v52, v56
	v_mul_f32_e32 v27, v52, v57
	v_rndne_f32_e32 v56, v60
	v_fmac_f32_e32 v47, 0x32a5705f, v58
	v_fma_f32 v57, v59, s7, -v62
	v_rndne_f32_e32 v58, v61
	v_fmac_f32_e32 v57, 0x32a5705f, v59
	v_sub_f32_e32 v59, v60, v56
	v_sub_f32_e32 v60, v61, v58
	v_add_f32_e32 v47, v60, v47
	v_cvt_i32_f32_e32 v58, v58
	v_exp_f32_e32 v47, v47
	v_mul_f32_e32 v23, v52, v54
	v_mul_f32_e32 v54, 0x3fb8aa3b, v63
	v_add_f32_e32 v55, v59, v55
	v_rndne_f32_e32 v59, v62
	v_fma_f32 v60, v63, s7, -v54
	v_rndne_f32_e32 v64, v54
	v_sub_f32_e32 v61, v62, v59
	v_fmac_f32_e32 v60, 0x32a5705f, v63
	v_sub_f32_e32 v54, v54, v64
	v_cvt_i32_f32_e32 v56, v56
	v_exp_f32_e32 v55, v55
	v_ldexp_f32 v47, v47, v58
	v_add_f32_e32 v57, v61, v57
	v_add_f32_e32 v65, v54, v60
	v_mov_b32_e32 v54, 0x7f800000
	v_cndmask_b32_e64 v47, 0, v47, s[8:9]
	v_cvt_i32_f32_e32 v59, v59
	v_exp_f32_e32 v57, v57
	v_cndmask_b32_e64 v47, v54, v47, s[0:1]
	v_fmac_f32_e32 v24, v49, v47
	v_cvt_i32_f32_e32 v47, v64
	v_exp_f32_e32 v49, v65
	v_ldexp_f32 v55, v55, v56
	v_cndmask_b32_e64 v55, 0, v55, s[2:3]
	v_ldexp_f32 v59, v57, v59
	v_cndmask_b32_e64 v55, v54, v55, s[4:5]
	v_fmac_f32_e32 v23, v51, v55
	v_cndmask_b32_e64 v51, 0, v59, s[12:13]
	v_cmp_ngt_f32_e64 s[0:1], s24, v63
	v_ldexp_f32 v47, v49, v47
	v_cndmask_b32_e64 v51, v54, v51, s[10:11]
	v_cmp_nlt_f32_e64 s[2:3], s28, v63
	v_cndmask_b32_e64 v47, 0, v47, s[0:1]
	v_fmac_f32_e32 v26, v50, v51
	v_mul_f32_e32 v50, 0x3fb8aa3b, v66
	v_cndmask_b32_e64 v47, v54, v47, s[2:3]
	v_fma_f32 v51, v66, s7, -v50
	v_fmac_f32_e32 v27, v43, v47
	v_rndne_f32_e32 v43, v50
	v_fmac_f32_e32 v51, 0x32a5705f, v66
	v_sub_f32_e32 v47, v50, v43
	v_add_f32_e32 v47, v47, v51
	v_exp_f32_e32 v47, v47
	v_cvt_i32_f32_e32 v43, v43
	ds_read_b128 v[55:58], v53 offset:16
	ds_read_b128 v[59:62], v53 offset:64
	v_cmp_ngt_f32_e64 s[0:1], s24, v66
	v_ldexp_f32 v43, v47, v43
	v_mul_f32_e32 v47, v48, v10
	v_mul_f32_e32 v50, 0x3fb8aa3b, v47
	s_waitcnt lgkmcnt(0)
	v_fma_f32 v49, v59, v23, 0
	v_fma_f32 v51, v47, s7, -v50
	v_rndne_f32_e32 v59, v50
	v_fmac_f32_e32 v51, 0x32a5705f, v47
	v_sub_f32_e32 v50, v50, v59
	v_add_f32_e32 v50, v50, v51
	v_exp_f32_e32 v50, v50
	v_cvt_i32_f32_e32 v51, v59
	v_cndmask_b32_e64 v43, 0, v43, s[0:1]
	v_cmp_nlt_f32_e64 s[0:1], s28, v66
	v_cndmask_b32_e64 v59, v54, v43, s[0:1]
	v_mul_f32_e32 v43, v52, v55
	v_fmac_f32_e32 v43, v44, v59
	v_ldexp_f32 v44, v50, v51
	v_cmp_ngt_f32_e64 s[0:1], s24, v47
	v_cndmask_b32_e64 v44, 0, v44, s[0:1]
	v_cmp_nlt_f32_e64 s[0:1], s28, v47
	v_mul_f32_e32 v50, v48, v11
	v_cndmask_b32_e64 v47, v54, v44, s[0:1]
	v_mul_f32_e32 v44, 0x3fb8aa3b, v50
	v_fma_f32 v51, v50, s7, -v44
	v_rndne_f32_e32 v55, v44
	v_fmac_f32_e32 v51, 0x32a5705f, v50
	v_sub_f32_e32 v44, v44, v55
	v_add_f32_e32 v44, v44, v51
	v_exp_f32_e32 v51, v44
	v_cvt_i32_f32_e32 v55, v55
	v_mul_f32_e32 v44, v52, v56
	v_fmac_f32_e32 v44, v46, v47
	v_cmp_ngt_f32_e64 s[0:1], s24, v50
	v_ldexp_f32 v46, v51, v55
	v_cndmask_b32_e64 v46, 0, v46, s[0:1]
	v_cmp_nlt_f32_e64 s[0:1], s28, v50
	v_cndmask_b32_e64 v47, v54, v46, s[0:1]
	v_mul_f32_e32 v46, v52, v57
	v_fmac_f32_e32 v46, v32, v47
	v_mul_f32_e32 v47, v48, v12
	v_mul_f32_e32 v32, 0x3fb8aa3b, v47
	v_fma_f32 v50, v47, s7, -v32
	v_rndne_f32_e32 v51, v32
	v_fmac_f32_e32 v50, 0x32a5705f, v47
	v_sub_f32_e32 v32, v32, v51
	v_add_f32_e32 v32, v32, v50
	v_exp_f32_e32 v50, v32
	v_cvt_i32_f32_e32 v51, v51
	v_cmp_ngt_f32_e64 s[0:1], s24, v47
	v_mul_f32_e32 v32, v52, v58
	v_fmac_f32_e32 v49, v60, v24
	v_ldexp_f32 v50, v50, v51
	v_cndmask_b32_e64 v50, 0, v50, s[0:1]
	v_cmp_nlt_f32_e64 s[0:1], s28, v47
	v_cndmask_b32_e64 v47, v54, v50, s[0:1]
	v_fmac_f32_e32 v32, v31, v47
	v_mul_f32_e32 v31, v48, v5
	v_mul_f32_e32 v47, 0x3fb8aa3b, v31
	v_fma_f32 v50, v31, s7, -v47
	v_rndne_f32_e32 v51, v47
	v_fmac_f32_e32 v50, 0x32a5705f, v31
	v_sub_f32_e32 v47, v47, v51
	v_add_f32_e32 v47, v47, v50
	v_exp_f32_e32 v47, v47
	v_cvt_i32_f32_e32 v50, v51
	v_fmac_f32_e32 v49, v61, v26
	v_fmac_f32_e32 v49, v62, v27
	ds_read_b128 v[59:62], v53 offset:80
	ds_read_b128 v[55:58], v53 offset:32
	v_ldexp_f32 v47, v47, v50
	v_cmp_ngt_f32_e64 s[0:1], s24, v31
	v_cndmask_b32_e64 v47, 0, v47, s[0:1]
	v_cmp_nlt_f32_e64 s[0:1], s28, v31
	v_mul_f32_e32 v31, v48, v6
	v_mul_f32_e32 v50, 0x3fb8aa3b, v31
	s_waitcnt lgkmcnt(1)
	v_fmac_f32_e32 v49, v59, v43
	v_fma_f32 v51, v31, s7, -v50
	v_rndne_f32_e32 v59, v50
	v_fmac_f32_e32 v51, 0x32a5705f, v31
	v_sub_f32_e32 v50, v50, v59
	v_add_f32_e32 v50, v50, v51
	v_exp_f32_e32 v50, v50
	v_cvt_i32_f32_e32 v51, v59
	v_cndmask_b32_e64 v59, v54, v47, s[0:1]
	s_waitcnt lgkmcnt(0)
	v_mul_f32_e32 v47, v52, v55
	v_fmac_f32_e32 v47, v29, v59
	v_ldexp_f32 v29, v50, v51
	v_cmp_ngt_f32_e64 s[0:1], s24, v31
	v_mul_f32_e32 v50, v48, v7
	v_cndmask_b32_e64 v29, 0, v29, s[0:1]
	v_cmp_nlt_f32_e64 s[0:1], s28, v31
	v_mul_f32_e32 v31, 0x3fb8aa3b, v50
	v_fma_f32 v51, v50, s7, -v31
	v_rndne_f32_e32 v55, v31
	v_fmac_f32_e32 v51, 0x32a5705f, v50
	v_sub_f32_e32 v31, v31, v55
	v_add_f32_e32 v31, v31, v51
	v_exp_f32_e32 v51, v31
	v_cvt_i32_f32_e32 v55, v55
	v_cndmask_b32_e64 v29, v54, v29, s[0:1]
	v_mul_f32_e32 v31, v52, v56
	v_fmac_f32_e32 v31, v30, v29
	v_ldexp_f32 v29, v51, v55
	v_cmp_ngt_f32_e64 s[0:1], s24, v50
	v_cndmask_b32_e64 v29, 0, v29, s[0:1]
	v_cmp_nlt_f32_e64 s[0:1], s28, v50
	v_cndmask_b32_e64 v30, v54, v29, s[0:1]
	v_mul_f32_e32 v29, v52, v57
	v_fmac_f32_e32 v29, v28, v30
	v_mul_f32_e32 v30, v48, v8
	v_mul_f32_e32 v28, 0x3fb8aa3b, v30
	v_fma_f32 v50, v30, s7, -v28
	v_rndne_f32_e32 v51, v28
	v_fmac_f32_e32 v50, 0x32a5705f, v30
	v_sub_f32_e32 v28, v28, v51
	v_add_f32_e32 v28, v28, v50
	v_exp_f32_e32 v50, v28
	v_cvt_i32_f32_e32 v51, v51
	v_cmp_ngt_f32_e64 s[0:1], s24, v30
	v_mul_f32_e32 v28, v52, v58
	v_fmac_f32_e32 v49, v60, v44
	v_ldexp_f32 v50, v50, v51
	v_cndmask_b32_e64 v50, 0, v50, s[0:1]
	v_cmp_nlt_f32_e64 s[0:1], s28, v30
	v_cndmask_b32_e64 v30, v54, v50, s[0:1]
	v_fmac_f32_e32 v28, v25, v30
	v_mul_f32_e32 v25, v48, v1
	v_mul_f32_e32 v30, 0x3fb8aa3b, v25
	v_fmac_f32_e32 v49, v61, v46
	v_fma_f32 v50, v25, s7, -v30
	v_rndne_f32_e32 v51, v30
	v_fmac_f32_e32 v49, v62, v32
	ds_read_b128 v[59:62], v53 offset:96
	ds_read_b128 v[55:58], v53 offset:48
	v_fmac_f32_e32 v50, 0x32a5705f, v25
	v_sub_f32_e32 v30, v30, v51
	v_add_f32_e32 v30, v30, v50
	v_exp_f32_e32 v30, v30
	v_cvt_i32_f32_e32 v50, v51
	s_waitcnt lgkmcnt(1)
	v_fmac_f32_e32 v49, v59, v47
	v_fmac_f32_e32 v49, v60, v31
	v_cmp_ngt_f32_e64 s[0:1], s24, v25
	v_ldexp_f32 v30, v30, v50
	v_mul_f32_e32 v50, v48, v2
	v_fmac_f32_e32 v49, v61, v29
	v_cndmask_b32_e64 v30, 0, v30, s[0:1]
	v_cmp_nlt_f32_e64 s[0:1], s28, v25
	v_mul_f32_e32 v25, 0x3fb8aa3b, v50
	v_fmac_f32_e32 v49, v62, v28
	ds_read_b128 v[59:62], v53 offset:112
	v_fma_f32 v51, v50, s7, -v25
	v_rndne_f32_e32 v53, v25
	v_fmac_f32_e32 v51, 0x32a5705f, v50
	v_sub_f32_e32 v25, v25, v53
	v_add_f32_e32 v25, v25, v51
	v_exp_f32_e32 v51, v25
	v_cvt_i32_f32_e32 v53, v53
	v_cndmask_b32_e64 v30, v54, v30, s[0:1]
	s_waitcnt lgkmcnt(1)
	v_mul_f32_e32 v25, v52, v55
	v_fmac_f32_e32 v25, v42, v30
	v_ldexp_f32 v30, v51, v53
	v_cmp_ngt_f32_e64 s[0:1], s24, v50
	v_cndmask_b32_e64 v30, 0, v30, s[0:1]
	v_cmp_nlt_f32_e64 s[0:1], s28, v50
	v_mul_f32_e32 v50, v48, v3
	v_cndmask_b32_e64 v42, v54, v30, s[0:1]
	v_mul_f32_e32 v30, 0x3fb8aa3b, v50
	v_fma_f32 v51, v50, s7, -v30
	v_rndne_f32_e32 v53, v30
	v_fmac_f32_e32 v51, 0x32a5705f, v50
	v_sub_f32_e32 v30, v30, v53
	v_add_f32_e32 v30, v30, v51
	v_exp_f32_e32 v51, v30
	v_cvt_i32_f32_e32 v53, v53
	v_mul_f32_e32 v30, v52, v56
	v_fmac_f32_e32 v30, v41, v42
	v_cmp_ngt_f32_e64 s[0:1], s24, v50
	v_ldexp_f32 v41, v51, v53
	v_cndmask_b32_e64 v41, 0, v41, s[0:1]
	v_cmp_nlt_f32_e64 s[0:1], s28, v50
	v_mul_f32_e32 v48, v48, v4
	v_cndmask_b32_e64 v42, v54, v41, s[0:1]
	v_mul_f32_e32 v41, 0x3fb8aa3b, v48
	v_fma_f32 v50, v48, s7, -v41
	v_rndne_f32_e32 v51, v41
	v_fmac_f32_e32 v50, 0x32a5705f, v48
	v_sub_f32_e32 v41, v41, v51
	v_add_f32_e32 v41, v41, v50
	v_exp_f32_e32 v50, v41
	v_cvt_i32_f32_e32 v51, v51
	v_mul_f32_e32 v41, v52, v57
	v_fmac_f32_e32 v41, v40, v42
	v_cmp_ngt_f32_e64 s[0:1], s24, v48
	v_ldexp_f32 v40, v50, v51
	s_waitcnt lgkmcnt(0)
	v_fmac_f32_e32 v49, v59, v25
	v_cndmask_b32_e64 v40, 0, v40, s[0:1]
	v_cmp_nlt_f32_e64 s[0:1], s28, v48
	v_fmac_f32_e32 v49, v60, v30
	v_cndmask_b32_e64 v42, v54, v40, s[0:1]
	v_mul_f32_e32 v40, v52, v58
	s_ashr_i64 s[2:3], s[16:17], 30
	v_fmac_f32_e32 v49, v61, v41
	v_fmac_f32_e32 v40, v45, v42
	v_add_co_u32_e64 v50, s[0:1], s2, v21
	v_mov_b32_e32 v42, s3
	v_fmac_f32_e32 v49, v62, v40
	v_addc_co_u32_e64 v51, s[0:1], v22, v42, s[0:1]
	global_store_dword v[50:51], v49, off
	s_waitcnt vmcnt(0)
	s_barrier
	s_and_saveexec_b64 s[0:1], vcc
	s_cbranch_execz .LBB4_10
; %bb.9:
	s_lshl_b64 s[2:3], s[18:19], 3
	v_mov_b32_e32 v42, s3
	v_add_co_u32_e32 v37, vcc, s2, v37
	v_addc_co_u32_e32 v38, vcc, v38, v42, vcc
	s_lshl_b64 s[2:3], s[14:15], 3
	global_load_dword v37, v[37:38], off
	v_mov_b32_e32 v38, s3
	v_add_co_u32_e32 v35, vcc, s2, v35
	v_addc_co_u32_e32 v36, vcc, v36, v38, vcc
	global_load_dword v35, v[35:36], off
	s_waitcnt vmcnt(1)
	ds_write_b32 v0, v37
	s_waitcnt vmcnt(0)
	ds_write_b32 v39, v35
.LBB4_10:
	s_or_b64 exec, exec, s[0:1]
	v_mov_b32_e32 v0, s21
	v_add_co_u32_e32 v17, vcc, s20, v17
	v_addc_co_u32_e32 v18, vcc, v18, v0, vcc
	s_waitcnt lgkmcnt(0)
	s_barrier
	global_load_dword v0, v[17:18], off
	s_mov_b32 s0, 0x41a00000
	s_waitcnt vmcnt(0)
	v_cmp_ge_f32_e32 vcc, s0, v0
	s_and_saveexec_b64 s[0:1], vcc
	s_cbranch_execz .LBB4_12
; %bb.11:
	v_mul_f32_e32 v17, 0x3fb8aa3b, v0
	s_mov_b32 s2, 0x3fb8aa3b
	v_rndne_f32_e32 v18, v17
	v_sub_f32_e32 v35, v17, v18
	v_fma_f32 v17, v0, s2, -v17
	v_fmac_f32_e32 v17, 0x32a5705f, v0
	v_add_f32_e32 v17, v35, v17
	v_exp_f32_e32 v17, v17
	v_cvt_i32_f32_e32 v18, v18
	s_mov_b32 s2, 0xc2ce8ed0
	v_cmp_ngt_f32_e32 vcc, s2, v0
	s_mov_b32 s2, 0x42b17218
	v_ldexp_f32 v17, v17, v18
	v_cndmask_b32_e32 v17, 0, v17, vcc
	v_mov_b32_e32 v35, 0x7f800000
	v_cmp_nlt_f32_e32 vcc, s2, v0
	v_cndmask_b32_e32 v0, v35, v17, vcc
	v_add_f32_e32 v36, 1.0, v0
	v_cvt_f64_f32_e32 v[17:18], v36
	v_add_f32_e32 v37, -1.0, v36
	v_sub_f32_e32 v38, v37, v36
	v_sub_f32_e32 v37, v0, v37
	v_frexp_exp_i32_f64_e32 v17, v[17:18]
	v_add_f32_e32 v18, 1.0, v38
	v_add_f32_e32 v18, v37, v18
	v_frexp_mant_f32_e32 v37, v36
	s_mov_b32 s3, 0x3f2aaaab
	v_cmp_gt_f32_e32 vcc, s3, v37
	s_mov_b32 s3, 0x3f317218
	s_mov_b32 s2, 0x7f800000
	v_subbrev_co_u32_e32 v17, vcc, 0, v17, vcc
	v_sub_u32_e32 v37, 0, v17
	v_ldexp_f32 v36, v36, v37
	v_ldexp_f32 v18, v18, v37
	v_add_f32_e32 v37, -1.0, v36
	v_add_f32_e32 v42, 1.0, v36
	v_add_f32_e32 v38, 1.0, v37
	v_add_f32_e32 v45, -1.0, v42
	v_sub_f32_e32 v38, v36, v38
	v_sub_f32_e32 v36, v36, v45
	v_add_f32_e32 v38, v18, v38
	v_add_f32_e32 v18, v18, v36
	;; [unrolled: 1-line block ×3, first 2 shown]
	v_rcp_f32_e32 v45, v36
	v_add_f32_e32 v39, v37, v38
	v_sub_f32_e32 v37, v37, v39
	v_add_f32_e32 v37, v38, v37
	v_sub_f32_e32 v38, v42, v36
	v_add_f32_e32 v18, v18, v38
	v_mul_f32_e32 v38, v39, v45
	v_mul_f32_e32 v42, v36, v38
	v_fma_f32 v48, v38, v36, -v42
	v_fmac_f32_e32 v48, v38, v18
	v_add_f32_e32 v49, v42, v48
	v_sub_f32_e32 v50, v39, v49
	v_sub_f32_e32 v39, v39, v50
	;; [unrolled: 1-line block ×4, first 2 shown]
	v_add_f32_e32 v37, v37, v39
	v_sub_f32_e32 v39, v42, v48
	v_add_f32_e32 v37, v39, v37
	v_add_f32_e32 v39, v50, v37
	v_mul_f32_e32 v42, v45, v39
	v_mul_f32_e32 v48, v36, v42
	v_fma_f32 v36, v42, v36, -v48
	v_fmac_f32_e32 v36, v42, v18
	v_sub_f32_e32 v18, v50, v39
	v_add_f32_e32 v18, v37, v18
	v_add_f32_e32 v37, v48, v36
	v_sub_f32_e32 v49, v39, v37
	v_sub_f32_e32 v39, v39, v49
	;; [unrolled: 1-line block ×4, first 2 shown]
	v_add_f32_e32 v18, v18, v37
	v_sub_f32_e32 v36, v48, v36
	v_add_f32_e32 v18, v36, v18
	v_add_f32_e32 v36, v38, v42
	;; [unrolled: 1-line block ×3, first 2 shown]
	v_sub_f32_e32 v37, v36, v38
	v_mul_f32_e32 v18, v45, v18
	v_sub_f32_e32 v37, v42, v37
	v_add_f32_e32 v18, v37, v18
	v_cvt_f32_i32_e32 v17, v17
	v_add_f32_e32 v37, v36, v18
	v_mul_f32_e32 v38, v37, v37
	v_mov_b32_e32 v39, 0x3ecc95a3
	v_fmac_f32_e32 v39, 0x3e9b6dac, v38
	v_mov_b32_e32 v42, 0x3f2aaada
	v_fmac_f32_e32 v42, v38, v39
	v_mul_f32_e32 v39, 0x3f317218, v17
	v_fma_f32 v45, v17, s3, -v39
	v_fmac_f32_e32 v45, 0xb102e308, v17
	v_sub_f32_e32 v17, v37, v36
	v_sub_f32_e32 v17, v18, v17
	v_add_f32_e32 v18, v39, v45
	v_sub_f32_e32 v36, v18, v39
	v_ldexp_f32 v39, v37, 1
	v_mul_f32_e32 v37, v37, v38
	v_mul_f32_e32 v37, v37, v42
	v_add_f32_e32 v38, v39, v37
	v_sub_f32_e32 v39, v38, v39
	v_ldexp_f32 v17, v17, 1
	v_sub_f32_e32 v37, v37, v39
	v_add_f32_e32 v17, v17, v37
	v_add_f32_e32 v37, v38, v17
	v_sub_f32_e32 v38, v37, v38
	v_sub_f32_e32 v17, v17, v38
	v_add_f32_e32 v38, v18, v37
	v_sub_f32_e32 v39, v38, v18
	v_sub_f32_e32 v42, v38, v39
	;; [unrolled: 1-line block ×5, first 2 shown]
	v_add_f32_e32 v18, v37, v18
	v_add_f32_e32 v37, v36, v17
	v_sub_f32_e32 v39, v37, v36
	v_sub_f32_e32 v42, v37, v39
	;; [unrolled: 1-line block ×4, first 2 shown]
	v_add_f32_e32 v18, v37, v18
	v_add_f32_e32 v17, v17, v36
	;; [unrolled: 1-line block ×3, first 2 shown]
	v_sub_f32_e32 v37, v36, v38
	v_sub_f32_e32 v18, v18, v37
	v_add_f32_e32 v17, v17, v18
	v_add_f32_e32 v17, v36, v17
	v_cmp_neq_f32_e32 vcc, s2, v0
	s_mov_b32 s2, 0x33800000
	v_cndmask_b32_e32 v17, v35, v17, vcc
	v_cmp_gt_f32_e32 vcc, s2, v0
	v_cndmask_b32_e32 v0, v17, v0, vcc
.LBB4_12:
	s_or_b64 exec, exec, s[0:1]
	v_mov_b32_e32 v18, s27
	v_add_co_u32_e32 v17, vcc, s26, v19
	v_addc_co_u32_e32 v18, vcc, v20, v18, vcc
	global_load_dword v18, v[17:18], off
	v_mul_f32_e32 v19, v0, v13
	v_mul_f32_e32 v14, v0, v14
	s_mov_b32 s5, 0x3fb8aa3b
	v_mul_f32_e32 v15, v0, v15
	v_mul_f32_e32 v20, 0x3fb8aa3b, v19
	;; [unrolled: 1-line block ×5, first 2 shown]
	v_fma_f32 v52, v19, s5, -v20
	v_rndne_f32_e32 v53, v20
	v_fma_f32 v54, v14, s5, -v39
	v_rndne_f32_e32 v55, v39
	v_mul_f32_e32 v45, 0x3fb8aa3b, v16
	v_fma_f32 v56, v15, s5, -v42
	v_rndne_f32_e32 v57, v42
	v_fmac_f32_e32 v52, 0x32a5705f, v19
	v_sub_f32_e32 v20, v20, v53
	v_fmac_f32_e32 v54, 0x32a5705f, v14
	v_sub_f32_e32 v39, v39, v55
	v_add_f32_e32 v20, v20, v52
	v_fma_f32 v52, v16, s5, -v45
	v_add_f32_e32 v39, v39, v54
	v_rndne_f32_e32 v54, v45
	v_fmac_f32_e32 v56, 0x32a5705f, v15
	v_sub_f32_e32 v42, v42, v57
	v_cvt_i32_f32_e32 v53, v53
	v_fmac_f32_e32 v52, 0x32a5705f, v16
	v_sub_f32_e32 v45, v45, v54
	v_add_f32_e32 v42, v42, v56
	v_exp_f32_e32 v20, v20
	v_cvt_i32_f32_e32 v55, v55
	v_cvt_i32_f32_e32 v57, v57
	v_add_f32_e32 v45, v45, v52
	v_exp_f32_e32 v39, v39
	v_exp_f32_e32 v42, v42
	v_cvt_i32_f32_e32 v54, v54
	v_exp_f32_e32 v45, v45
	s_mov_b32 s4, 0xc2ce8ed0
	v_mov_b32_e32 v17, 0
	s_mul_i32 s8, s25, s6
	s_mov_b32 s6, 0x42b17218
	ds_read_b128 v[35:38], v17
	ds_read_b128 v[48:51], v17 offset:16
	v_ldexp_f32 v20, v20, v53
	v_cmp_ngt_f32_e32 vcc, s4, v19
	v_mov_b32_e32 v13, 0x7f800000
	v_ldexp_f32 v39, v39, v55
	v_ldexp_f32 v42, v42, v57
	v_cndmask_b32_e32 v20, 0, v20, vcc
	v_cmp_nlt_f32_e32 vcc, s6, v19
	v_cmp_ngt_f32_e64 s[0:1], s4, v14
	v_cmp_ngt_f32_e64 s[2:3], s4, v15
	v_ldexp_f32 v45, v45, v54
	v_cndmask_b32_e64 v19, 0, v39, s[0:1]
	v_cmp_nlt_f32_e64 s[0:1], s6, v14
	v_cndmask_b32_e64 v14, 0, v42, s[2:3]
	v_cmp_ngt_f32_e64 s[2:3], s4, v16
	v_cndmask_b32_e32 v20, v13, v20, vcc
	v_cmp_nlt_f32_e32 vcc, s6, v15
	v_mul_f32_e32 v9, v0, v9
	v_cndmask_b32_e64 v39, 0, v45, s[2:3]
	v_cndmask_b32_e32 v14, v13, v14, vcc
	v_cmp_nlt_f32_e32 vcc, s6, v16
	v_mul_f32_e32 v60, 0x3fb8aa3b, v9
	v_cndmask_b32_e32 v15, v13, v39, vcc
	v_mul_f32_e32 v10, v0, v10
	v_cmp_ngt_f32_e32 vcc, s4, v9
	v_mul_f32_e32 v11, v0, v11
	v_mul_f32_e32 v5, v0, v5
	ds_read_b128 v[52:55], v17 offset:64
	ds_read_b128 v[56:59], v17 offset:80
	v_cndmask_b32_e64 v19, v13, v19, s[0:1]
	v_mul_f32_e32 v6, v0, v6
	v_mul_f32_e32 v7, v0, v7
	;; [unrolled: 1-line block ×6, first 2 shown]
	s_add_u32 s7, s22, s36
	s_addc_u32 s9, s23, s37
	s_add_u32 s0, s7, s8
	s_waitcnt vmcnt(0)
	v_mul_f32_e32 v18, v0, v18
	s_waitcnt lgkmcnt(3)
	v_mul_f32_e32 v37, v18, v37
	v_mul_f32_e32 v38, v18, v38
	v_fmac_f32_e32 v37, v26, v14
	v_fmac_f32_e32 v38, v27, v15
	v_fma_f32 v14, v9, s5, -v60
	v_rndne_f32_e32 v15, v60
	v_fmac_f32_e32 v14, 0x32a5705f, v9
	v_sub_f32_e32 v16, v60, v15
	v_add_f32_e32 v14, v16, v14
	v_exp_f32_e32 v14, v14
	v_cvt_i32_f32_e32 v15, v15
	v_mul_f32_e32 v35, v18, v35
	v_fmac_f32_e32 v35, v23, v20
	v_mul_f32_e32 v36, v18, v36
	v_ldexp_f32 v14, v14, v15
	v_mul_f32_e32 v15, 0x3fb8aa3b, v10
	v_fma_f32 v16, v10, s5, -v15
	v_rndne_f32_e32 v20, v15
	v_fmac_f32_e32 v16, 0x32a5705f, v10
	v_sub_f32_e32 v15, v15, v20
	v_add_f32_e32 v15, v15, v16
	v_exp_f32_e32 v15, v15
	v_cvt_i32_f32_e32 v16, v20
	v_cndmask_b32_e32 v14, 0, v14, vcc
	v_cmp_nlt_f32_e32 vcc, s6, v9
	v_cndmask_b32_e32 v14, v13, v14, vcc
	s_waitcnt lgkmcnt(2)
	v_mul_f32_e32 v9, v18, v48
	v_fmac_f32_e32 v9, v43, v14
	v_ldexp_f32 v14, v15, v16
	v_mul_f32_e32 v15, 0x3fb8aa3b, v11
	v_fma_f32 v16, v11, s5, -v15
	v_rndne_f32_e32 v20, v15
	v_fmac_f32_e32 v16, 0x32a5705f, v11
	v_sub_f32_e32 v15, v15, v20
	v_add_f32_e32 v15, v15, v16
	v_exp_f32_e32 v15, v15
	v_cvt_i32_f32_e32 v16, v20
	v_cmp_ngt_f32_e32 vcc, s4, v10
	v_cndmask_b32_e32 v14, 0, v14, vcc
	v_cmp_nlt_f32_e32 vcc, s6, v10
	v_cndmask_b32_e32 v14, v13, v14, vcc
	v_mul_f32_e32 v10, v18, v49
	v_fmac_f32_e32 v10, v44, v14
	v_ldexp_f32 v14, v15, v16
	v_cmp_ngt_f32_e32 vcc, s4, v11
	v_mul_f32_e32 v15, v0, v12
	v_cndmask_b32_e32 v14, 0, v14, vcc
	v_cmp_nlt_f32_e32 vcc, s6, v11
	v_mul_f32_e32 v11, 0x3fb8aa3b, v15
	v_fma_f32 v12, v15, s5, -v11
	v_rndne_f32_e32 v16, v11
	v_fmac_f32_e32 v12, 0x32a5705f, v15
	v_sub_f32_e32 v11, v11, v16
	v_cndmask_b32_e32 v14, v13, v14, vcc
	v_add_f32_e32 v12, v11, v12
	v_mul_f32_e32 v11, v18, v50
	v_fmac_f32_e32 v11, v46, v14
	v_cvt_i32_f32_e32 v14, v16
	v_mul_f32_e32 v16, 0x3fb8aa3b, v5
	v_exp_f32_e32 v12, v12
	v_fma_f32 v20, v5, s5, -v16
	v_rndne_f32_e32 v23, v16
	v_fmac_f32_e32 v20, 0x32a5705f, v5
	v_sub_f32_e32 v16, v16, v23
	v_add_f32_e32 v16, v16, v20
	v_exp_f32_e32 v16, v16
	v_cvt_i32_f32_e32 v20, v23
	v_ldexp_f32 v12, v12, v14
	v_cmp_ngt_f32_e32 vcc, s4, v15
	v_cndmask_b32_e32 v14, 0, v12, vcc
	v_cmp_nlt_f32_e32 vcc, s6, v15
	v_mul_f32_e32 v12, v18, v51
	v_cndmask_b32_e32 v14, v13, v14, vcc
	v_fmac_f32_e32 v12, v32, v14
	v_ldexp_f32 v14, v16, v20
	v_cmp_ngt_f32_e32 vcc, s4, v5
	v_fmac_f32_e32 v36, v24, v19
	s_waitcnt lgkmcnt(1)
	v_fma_f32 v19, v52, v35, 0
	v_cndmask_b32_e32 v14, 0, v14, vcc
	v_cmp_nlt_f32_e32 vcc, s6, v5
	v_mul_f32_e32 v5, 0x3fb8aa3b, v6
	v_fmac_f32_e32 v19, v53, v36
	v_fma_f32 v15, v6, s5, -v5
	v_rndne_f32_e32 v16, v5
	v_fmac_f32_e32 v19, v54, v37
	v_fmac_f32_e32 v15, 0x32a5705f, v6
	v_sub_f32_e32 v5, v5, v16
	v_fmac_f32_e32 v19, v55, v38
	ds_read_b128 v[42:45], v17 offset:32
	ds_read_b128 v[52:55], v17 offset:48
	v_add_f32_e32 v5, v5, v15
	v_exp_f32_e32 v15, v5
	v_cvt_i32_f32_e32 v16, v16
	v_cndmask_b32_e32 v14, v13, v14, vcc
	s_waitcnt lgkmcnt(1)
	v_mul_f32_e32 v5, v18, v42
	v_fmac_f32_e32 v5, v47, v14
	v_ldexp_f32 v14, v15, v16
	v_cmp_ngt_f32_e32 vcc, s4, v6
	v_cndmask_b32_e32 v14, 0, v14, vcc
	v_cmp_nlt_f32_e32 vcc, s6, v6
	v_mul_f32_e32 v6, 0x3fb8aa3b, v7
	v_fma_f32 v15, v7, s5, -v6
	v_rndne_f32_e32 v16, v6
	v_fmac_f32_e32 v15, 0x32a5705f, v7
	v_sub_f32_e32 v6, v6, v16
	v_add_f32_e32 v6, v6, v15
	v_exp_f32_e32 v20, v6
	v_cvt_i32_f32_e32 v23, v16
	v_cndmask_b32_e32 v14, v13, v14, vcc
	v_cmp_ngt_f32_e32 vcc, s4, v7
	ds_read_b128 v[48:51], v17 offset:96
	v_ldexp_f32 v20, v20, v23
	v_cndmask_b32_e32 v20, 0, v20, vcc
	v_cmp_nlt_f32_e32 vcc, s6, v7
	v_mul_f32_e32 v7, 0x3fb8aa3b, v8
	v_fma_f32 v23, v8, s5, -v7
	v_rndne_f32_e32 v24, v7
	v_fmac_f32_e32 v23, 0x32a5705f, v8
	v_sub_f32_e32 v7, v7, v24
	v_add_f32_e32 v7, v7, v23
	v_exp_f32_e32 v23, v7
	v_cvt_i32_f32_e32 v24, v24
	v_cndmask_b32_e32 v20, v13, v20, vcc
	v_mul_f32_e32 v7, v18, v44
	v_fmac_f32_e32 v7, v29, v20
	v_ldexp_f32 v20, v23, v24
	v_cmp_ngt_f32_e32 vcc, s4, v8
	v_cndmask_b32_e32 v20, 0, v20, vcc
	v_cmp_nlt_f32_e32 vcc, s6, v8
	v_mul_f32_e32 v8, 0x3fb8aa3b, v1
	v_fma_f32 v23, v1, s5, -v8
	v_rndne_f32_e32 v24, v8
	v_fmac_f32_e32 v23, 0x32a5705f, v1
	v_sub_f32_e32 v8, v8, v24
	v_add_f32_e32 v8, v8, v23
	v_exp_f32_e32 v23, v8
	v_cvt_i32_f32_e32 v24, v24
	v_cndmask_b32_e32 v20, v13, v20, vcc
	v_mul_f32_e32 v8, v18, v45
	v_fmac_f32_e32 v8, v28, v20
	v_ldexp_f32 v20, v23, v24
	v_cmp_ngt_f32_e32 vcc, s4, v1
	v_fmac_f32_e32 v19, v56, v9
	v_cndmask_b32_e32 v20, 0, v20, vcc
	v_cmp_nlt_f32_e32 vcc, s6, v1
	v_mul_f32_e32 v1, 0x3fb8aa3b, v2
	v_fmac_f32_e32 v19, v57, v10
	v_fma_f32 v23, v2, s5, -v1
	v_rndne_f32_e32 v24, v1
	v_fmac_f32_e32 v19, v58, v11
	v_mul_f32_e32 v6, v18, v43
	v_fmac_f32_e32 v23, 0x32a5705f, v2
	v_sub_f32_e32 v1, v1, v24
	v_fmac_f32_e32 v19, v59, v12
	v_fmac_f32_e32 v6, v31, v14
	ds_read_b128 v[14:17], v17 offset:112
	v_add_f32_e32 v1, v1, v23
	s_waitcnt lgkmcnt(1)
	v_fmac_f32_e32 v19, v48, v5
	v_exp_f32_e32 v23, v1
	v_cvt_i32_f32_e32 v24, v24
	v_fmac_f32_e32 v19, v49, v6
	v_fmac_f32_e32 v19, v50, v7
	v_cndmask_b32_e32 v20, v13, v20, vcc
	v_mul_f32_e32 v1, v18, v52
	v_fmac_f32_e32 v19, v51, v8
	v_fmac_f32_e32 v1, v25, v20
	s_waitcnt lgkmcnt(0)
	v_fmac_f32_e32 v19, v14, v1
	v_ldexp_f32 v14, v23, v24
	v_cmp_ngt_f32_e32 vcc, s4, v2
	v_cndmask_b32_e32 v14, 0, v14, vcc
	v_cmp_nlt_f32_e32 vcc, s6, v2
	v_mul_f32_e32 v2, 0x3fb8aa3b, v3
	v_fma_f32 v20, v3, s5, -v2
	v_rndne_f32_e32 v23, v2
	v_fmac_f32_e32 v20, 0x32a5705f, v3
	v_sub_f32_e32 v2, v2, v23
	v_add_f32_e32 v2, v2, v20
	v_exp_f32_e32 v20, v2
	v_cvt_i32_f32_e32 v23, v23
	v_cndmask_b32_e32 v14, v13, v14, vcc
	v_mul_f32_e32 v2, v18, v53
	v_fmac_f32_e32 v2, v30, v14
	v_ldexp_f32 v14, v20, v23
	v_cmp_ngt_f32_e32 vcc, s4, v3
	v_mul_f32_e32 v0, v0, v4
	v_cndmask_b32_e32 v14, 0, v14, vcc
	v_cmp_nlt_f32_e32 vcc, s6, v3
	v_mul_f32_e32 v3, 0x3fb8aa3b, v0
	v_fmac_f32_e32 v19, v15, v2
	v_fma_f32 v4, v0, s5, -v3
	v_rndne_f32_e32 v15, v3
	v_fmac_f32_e32 v4, 0x32a5705f, v0
	v_sub_f32_e32 v3, v3, v15
	v_add_f32_e32 v3, v3, v4
	v_exp_f32_e32 v4, v3
	v_cvt_i32_f32_e32 v15, v15
	v_cndmask_b32_e32 v14, v13, v14, vcc
	v_cmp_ngt_f32_e32 vcc, s4, v0
	v_mul_f32_e32 v3, v18, v54
	v_ldexp_f32 v4, v4, v15
	v_cndmask_b32_e32 v4, 0, v4, vcc
	v_cmp_nlt_f32_e32 vcc, s6, v0
	s_addc_u32 s1, s9, 0
	v_fmac_f32_e32 v3, v41, v14
	v_cndmask_b32_e32 v0, v13, v4, vcc
	v_mul_f32_e32 v4, v18, v55
	s_ashr_i64 s[2:3], s[16:17], 29
	v_fmac_f32_e32 v19, v16, v3
	v_fmac_f32_e32 v4, v40, v0
	v_mov_b32_e32 v0, s3
	v_add_co_u32_e32 v13, vcc, s2, v21
	s_add_u32 s0, s0, s34
	v_fmac_f32_e32 v19, v17, v4
	v_addc_co_u32_e32 v14, vcc, v22, v0, vcc
	s_addc_u32 s1, s1, s33
	global_store_dword v[13:14], v19, off
	v_mov_b32_e32 v0, s1
	v_add_co_u32_e32 v13, vcc, s0, v33
	v_addc_co_u32_e32 v14, vcc, v0, v34, vcc
	s_waitcnt vmcnt(0)
	s_barrier
	global_store_dwordx4 v[13:14], v[35:38], off
	global_store_dwordx4 v[13:14], v[9:12], off offset:16
	global_store_dwordx4 v[13:14], v[5:8], off offset:32
	;; [unrolled: 1-line block ×3, first 2 shown]
	s_endpgm
	.section	.rodata,"a",@progbits
	.p2align	6, 0x0
	.amdhsa_kernel _Z12ssm_scan_f32ILm128ELm16ELm3EEvPKfS1_S1_S1_S1_S1_PKiPfiiiiiiiiiiilll
		.amdhsa_group_segment_fixed_size 128
		.amdhsa_private_segment_fixed_size 0
		.amdhsa_kernarg_size 136
		.amdhsa_user_sgpr_count 6
		.amdhsa_user_sgpr_private_segment_buffer 1
		.amdhsa_user_sgpr_dispatch_ptr 0
		.amdhsa_user_sgpr_queue_ptr 0
		.amdhsa_user_sgpr_kernarg_segment_ptr 1
		.amdhsa_user_sgpr_dispatch_id 0
		.amdhsa_user_sgpr_flat_scratch_init 0
		.amdhsa_user_sgpr_private_segment_size 0
		.amdhsa_uses_dynamic_stack 0
		.amdhsa_system_sgpr_private_segment_wavefront_offset 0
		.amdhsa_system_sgpr_workgroup_id_x 1
		.amdhsa_system_sgpr_workgroup_id_y 1
		.amdhsa_system_sgpr_workgroup_id_z 0
		.amdhsa_system_sgpr_workgroup_info 0
		.amdhsa_system_vgpr_workitem_id 0
		.amdhsa_next_free_vgpr 67
		.amdhsa_next_free_sgpr 44
		.amdhsa_reserve_vcc 1
		.amdhsa_reserve_flat_scratch 0
		.amdhsa_float_round_mode_32 0
		.amdhsa_float_round_mode_16_64 0
		.amdhsa_float_denorm_mode_32 3
		.amdhsa_float_denorm_mode_16_64 3
		.amdhsa_dx10_clamp 1
		.amdhsa_ieee_mode 1
		.amdhsa_fp16_overflow 0
		.amdhsa_exception_fp_ieee_invalid_op 0
		.amdhsa_exception_fp_denorm_src 0
		.amdhsa_exception_fp_ieee_div_zero 0
		.amdhsa_exception_fp_ieee_overflow 0
		.amdhsa_exception_fp_ieee_underflow 0
		.amdhsa_exception_fp_ieee_inexact 0
		.amdhsa_exception_int_div_zero 0
	.end_amdhsa_kernel
	.section	.text._Z12ssm_scan_f32ILm128ELm16ELm3EEvPKfS1_S1_S1_S1_S1_PKiPfiiiiiiiiiiilll,"axG",@progbits,_Z12ssm_scan_f32ILm128ELm16ELm3EEvPKfS1_S1_S1_S1_S1_PKiPfiiiiiiiiiiilll,comdat
.Lfunc_end4:
	.size	_Z12ssm_scan_f32ILm128ELm16ELm3EEvPKfS1_S1_S1_S1_S1_PKiPfiiiiiiiiiiilll, .Lfunc_end4-_Z12ssm_scan_f32ILm128ELm16ELm3EEvPKfS1_S1_S1_S1_S1_PKiPfiiiiiiiiiiilll
                                        ; -- End function
	.set _Z12ssm_scan_f32ILm128ELm16ELm3EEvPKfS1_S1_S1_S1_S1_PKiPfiiiiiiiiiiilll.num_vgpr, 67
	.set _Z12ssm_scan_f32ILm128ELm16ELm3EEvPKfS1_S1_S1_S1_S1_PKiPfiiiiiiiiiiilll.num_agpr, 0
	.set _Z12ssm_scan_f32ILm128ELm16ELm3EEvPKfS1_S1_S1_S1_S1_PKiPfiiiiiiiiiiilll.numbered_sgpr, 44
	.set _Z12ssm_scan_f32ILm128ELm16ELm3EEvPKfS1_S1_S1_S1_S1_PKiPfiiiiiiiiiiilll.num_named_barrier, 0
	.set _Z12ssm_scan_f32ILm128ELm16ELm3EEvPKfS1_S1_S1_S1_S1_PKiPfiiiiiiiiiiilll.private_seg_size, 0
	.set _Z12ssm_scan_f32ILm128ELm16ELm3EEvPKfS1_S1_S1_S1_S1_PKiPfiiiiiiiiiiilll.uses_vcc, 1
	.set _Z12ssm_scan_f32ILm128ELm16ELm3EEvPKfS1_S1_S1_S1_S1_PKiPfiiiiiiiiiiilll.uses_flat_scratch, 0
	.set _Z12ssm_scan_f32ILm128ELm16ELm3EEvPKfS1_S1_S1_S1_S1_PKiPfiiiiiiiiiiilll.has_dyn_sized_stack, 0
	.set _Z12ssm_scan_f32ILm128ELm16ELm3EEvPKfS1_S1_S1_S1_S1_PKiPfiiiiiiiiiiilll.has_recursion, 0
	.set _Z12ssm_scan_f32ILm128ELm16ELm3EEvPKfS1_S1_S1_S1_S1_PKiPfiiiiiiiiiiilll.has_indirect_call, 0
	.section	.AMDGPU.csdata,"",@progbits
; Kernel info:
; codeLenInByte = 8140
; TotalNumSgprs: 48
; NumVgprs: 67
; ScratchSize: 0
; MemoryBound: 0
; FloatMode: 240
; IeeeMode: 1
; LDSByteSize: 128 bytes/workgroup (compile time only)
; SGPRBlocks: 5
; VGPRBlocks: 16
; NumSGPRsForWavesPerEU: 48
; NumVGPRsForWavesPerEU: 67
; Occupancy: 3
; WaveLimiterHint : 1
; COMPUTE_PGM_RSRC2:SCRATCH_EN: 0
; COMPUTE_PGM_RSRC2:USER_SGPR: 6
; COMPUTE_PGM_RSRC2:TRAP_HANDLER: 0
; COMPUTE_PGM_RSRC2:TGID_X_EN: 1
; COMPUTE_PGM_RSRC2:TGID_Y_EN: 1
; COMPUTE_PGM_RSRC2:TGID_Z_EN: 0
; COMPUTE_PGM_RSRC2:TIDIG_COMP_CNT: 0
	.section	.text._Z12ssm_scan_f32ILm128ELm16ELm4EEvPKfS1_S1_S1_S1_S1_PKiPfiiiiiiiiiiilll,"axG",@progbits,_Z12ssm_scan_f32ILm128ELm16ELm4EEvPKfS1_S1_S1_S1_S1_PKiPfiiiiiiiiiiilll,comdat
	.protected	_Z12ssm_scan_f32ILm128ELm16ELm4EEvPKfS1_S1_S1_S1_S1_PKiPfiiiiiiiiiiilll ; -- Begin function _Z12ssm_scan_f32ILm128ELm16ELm4EEvPKfS1_S1_S1_S1_S1_PKiPfiiiiiiiiiiilll
	.globl	_Z12ssm_scan_f32ILm128ELm16ELm4EEvPKfS1_S1_S1_S1_S1_PKiPfiiiiiiiiiiilll
	.p2align	8
	.type	_Z12ssm_scan_f32ILm128ELm16ELm4EEvPKfS1_S1_S1_S1_S1_PKiPfiiiiiiiiiiilll,@function
_Z12ssm_scan_f32ILm128ELm16ELm4EEvPKfS1_S1_S1_S1_S1_PKiPfiiiiiiiiiiilll: ; @_Z12ssm_scan_f32ILm128ELm16ELm4EEvPKfS1_S1_S1_S1_S1_PKiPfiiiiiiiiiiilll
; %bb.0:
	s_load_dwordx16 s[8:23], s[4:5], 0x0
	s_load_dwordx8 s[24:31], s[4:5], 0x40
	s_mov_b32 s2, s7
	s_mov_b32 s7, 0
	s_lshl_b64 s[0:1], s[6:7], 2
	s_waitcnt lgkmcnt(0)
	s_add_u32 s0, s20, s0
	s_addc_u32 s1, s21, s1
	s_load_dword s0, s[0:1], 0x0
	v_mov_b32_e32 v2, 0
	s_load_dwordx4 s[40:43], s[4:5], 0x60
	s_waitcnt lgkmcnt(0)
	s_mul_i32 s0, s0, s25
	s_ashr_i32 s1, s0, 31
	s_add_u32 s0, s8, s0
	s_addc_u32 s1, s9, s1
	s_lshl_b32 s3, s2, 7
	s_ashr_i32 s8, s24, 31
	s_mul_i32 s8, s3, s8
	s_mul_hi_u32 s9, s3, s24
	s_add_i32 s8, s9, s8
	s_lshr_b32 s9, s2, 25
	s_mul_i32 s20, s9, s24
	s_add_i32 s33, s8, s20
	s_mul_i32 s34, s3, s24
	s_add_u32 s0, s0, s34
	s_addc_u32 s1, s1, s33
	s_ashr_i32 s8, s30, 31
	s_mul_i32 s8, s3, s8
	s_mul_hi_u32 s20, s3, s30
	s_add_i32 s8, s20, s8
	s_mul_i32 s9, s9, s30
	s_add_i32 s8, s8, s9
	s_mul_i32 s3, s3, s30
	s_add_u32 s3, s14, s3
	s_addc_u32 s8, s15, s8
	s_ashr_i32 s9, s30, 2
	v_mul_lo_u32 v1, s9, v0
	s_ashr_i32 s9, s24, 2
	v_mov_b32_e32 v5, s8
	v_lshlrev_b64 v[3:4], 2, v[1:2]
	v_mul_lo_u32 v1, s9, v0
	v_add_co_u32_e32 v35, vcc, s3, v3
	v_addc_co_u32_e32 v36, vcc, v5, v4, vcc
	v_lshlrev_b64 v[33:34], 2, v[1:2]
	v_mov_b32_e32 v1, s1
	v_add_co_u32_e32 v37, vcc, s0, v33
	v_addc_co_u32_e32 v38, vcc, v1, v34, vcc
	global_load_dwordx4 v[1:4], v[35:36], off offset:48
	global_load_dwordx4 v[5:8], v[35:36], off offset:32
	;; [unrolled: 1-line block ×3, first 2 shown]
	global_load_dwordx4 v[13:16], v[35:36], off
	global_load_dwordx4 v[17:20], v[37:38], off offset:48
	global_load_dwordx4 v[21:24], v[37:38], off offset:32
	;; [unrolled: 1-line block ×3, first 2 shown]
	global_load_dwordx4 v[29:32], v[37:38], off
	s_mul_i32 s0, s40, s6
	s_add_u32 s0, s16, s0
	s_mov_b32 s3, s7
	s_mul_i32 s1, s42, s6
	s_addc_u32 s7, s17, 0
	v_cmp_gt_u32_e32 vcc, 16, v0
	v_lshlrev_b32_e32 v0, 2, v0
	s_add_u32 s8, s18, s1
	v_mov_b32_e32 v36, s7
	v_add_co_u32_e64 v35, s[0:1], s0, v0
	s_addc_u32 s9, s19, 0
	v_addc_co_u32_e64 v36, s[0:1], 0, v36, s[0:1]
	v_mov_b32_e32 v38, s9
	v_add_co_u32_e64 v37, s[0:1], s8, v0
	v_addc_co_u32_e64 v38, s[0:1], 0, v38, s[0:1]
	v_add_u32_e32 v41, 64, v0
	s_and_saveexec_b64 s[0:1], vcc
	s_cbranch_execz .LBB5_2
; %bb.1:
	global_load_dword v39, v[35:36], off
	global_load_dword v40, v[37:38], off
	s_waitcnt vmcnt(1)
	ds_write_b32 v0, v39
	s_waitcnt vmcnt(0)
	ds_write_b32 v41, v40
.LBB5_2:
	s_or_b64 exec, exec, s[0:1]
	s_lshl_b64 s[2:3], s[2:3], 9
	s_mul_i32 s0, s29, s6
	s_add_u32 s0, s12, s0
	s_addc_u32 s1, s13, 0
	s_add_u32 s0, s0, s2
	s_addc_u32 s1, s1, s3
	s_waitcnt vmcnt(0) lgkmcnt(0)
	s_barrier
	global_load_dword v44, v0, s[0:1]
	v_mov_b32_e32 v39, s1
	v_add_co_u32_e64 v42, s[0:1], s0, v0
	v_addc_co_u32_e64 v43, s[0:1], 0, v39, s[0:1]
	s_mov_b32 s0, 0x41a00000
	s_waitcnt vmcnt(0)
	v_cmp_ge_f32_e64 s[0:1], s0, v44
	s_and_saveexec_b64 s[8:9], s[0:1]
	s_cbranch_execz .LBB5_4
; %bb.3:
	v_mul_f32_e32 v39, 0x3fb8aa3b, v44
	s_mov_b32 s0, 0x3fb8aa3b
	v_rndne_f32_e32 v40, v39
	v_sub_f32_e32 v45, v39, v40
	v_fma_f32 v39, v44, s0, -v39
	v_fmac_f32_e32 v39, 0x32a5705f, v44
	v_add_f32_e32 v39, v45, v39
	v_exp_f32_e32 v39, v39
	v_cvt_i32_f32_e32 v40, v40
	s_mov_b32 s0, 0xc2ce8ed0
	v_cmp_ngt_f32_e64 s[0:1], s0, v44
	v_mov_b32_e32 v45, 0x7f800000
	v_ldexp_f32 v39, v39, v40
	v_cndmask_b32_e64 v39, 0, v39, s[0:1]
	s_mov_b32 s0, 0x42b17218
	v_cmp_nlt_f32_e64 s[0:1], s0, v44
	v_cndmask_b32_e64 v44, v45, v39, s[0:1]
	v_add_f32_e32 v46, 1.0, v44
	v_cvt_f64_f32_e32 v[39:40], v46
	v_add_f32_e32 v47, -1.0, v46
	v_sub_f32_e32 v48, v47, v46
	v_sub_f32_e32 v47, v44, v47
	v_frexp_exp_i32_f64_e32 v39, v[39:40]
	v_add_f32_e32 v40, 1.0, v48
	v_add_f32_e32 v40, v47, v40
	v_frexp_mant_f32_e32 v47, v46
	s_mov_b32 s0, 0x3f2aaaab
	v_cmp_gt_f32_e64 s[0:1], s0, v47
	s_mov_b32 s7, 0x7f800000
	v_subbrev_co_u32_e64 v39, s[0:1], 0, v39, s[0:1]
	v_sub_u32_e32 v47, 0, v39
	v_ldexp_f32 v46, v46, v47
	v_ldexp_f32 v40, v40, v47
	v_add_f32_e32 v47, -1.0, v46
	v_add_f32_e32 v50, 1.0, v46
	v_add_f32_e32 v48, 1.0, v47
	v_add_f32_e32 v51, -1.0, v50
	v_sub_f32_e32 v48, v46, v48
	v_sub_f32_e32 v46, v46, v51
	v_add_f32_e32 v48, v40, v48
	v_add_f32_e32 v40, v40, v46
	;; [unrolled: 1-line block ×3, first 2 shown]
	v_rcp_f32_e32 v51, v46
	v_add_f32_e32 v49, v47, v48
	v_sub_f32_e32 v47, v47, v49
	v_add_f32_e32 v47, v48, v47
	v_sub_f32_e32 v48, v50, v46
	v_add_f32_e32 v40, v40, v48
	v_mul_f32_e32 v48, v49, v51
	v_mul_f32_e32 v50, v46, v48
	v_fma_f32 v52, v48, v46, -v50
	v_fmac_f32_e32 v52, v48, v40
	v_add_f32_e32 v53, v50, v52
	v_sub_f32_e32 v54, v49, v53
	v_sub_f32_e32 v49, v49, v54
	;; [unrolled: 1-line block ×4, first 2 shown]
	v_add_f32_e32 v47, v47, v49
	v_sub_f32_e32 v49, v50, v52
	v_add_f32_e32 v47, v49, v47
	v_add_f32_e32 v49, v54, v47
	v_mul_f32_e32 v50, v51, v49
	v_mul_f32_e32 v52, v46, v50
	v_fma_f32 v46, v50, v46, -v52
	v_fmac_f32_e32 v46, v50, v40
	v_sub_f32_e32 v40, v54, v49
	v_add_f32_e32 v40, v47, v40
	v_add_f32_e32 v47, v52, v46
	v_sub_f32_e32 v53, v49, v47
	v_sub_f32_e32 v49, v49, v53
	v_sub_f32_e32 v52, v47, v52
	v_sub_f32_e32 v47, v49, v47
	v_add_f32_e32 v40, v40, v47
	v_sub_f32_e32 v46, v52, v46
	v_add_f32_e32 v40, v46, v40
	v_add_f32_e32 v46, v48, v50
	;; [unrolled: 1-line block ×3, first 2 shown]
	v_sub_f32_e32 v47, v46, v48
	v_mul_f32_e32 v40, v51, v40
	v_sub_f32_e32 v47, v50, v47
	v_add_f32_e32 v40, v47, v40
	v_cvt_f32_i32_e32 v39, v39
	v_add_f32_e32 v47, v46, v40
	v_mul_f32_e32 v48, v47, v47
	v_mov_b32_e32 v49, 0x3ecc95a3
	v_fmac_f32_e32 v49, 0x3e9b6dac, v48
	v_mov_b32_e32 v50, 0x3f2aaada
	v_fmac_f32_e32 v50, v48, v49
	s_mov_b32 s0, 0x3f317218
	v_mul_f32_e32 v49, 0x3f317218, v39
	v_fma_f32 v51, v39, s0, -v49
	v_fmac_f32_e32 v51, 0xb102e308, v39
	v_sub_f32_e32 v39, v47, v46
	v_sub_f32_e32 v39, v40, v39
	v_add_f32_e32 v40, v49, v51
	v_sub_f32_e32 v46, v40, v49
	v_ldexp_f32 v49, v47, 1
	v_mul_f32_e32 v47, v47, v48
	v_mul_f32_e32 v47, v47, v50
	v_add_f32_e32 v48, v49, v47
	v_sub_f32_e32 v49, v48, v49
	v_ldexp_f32 v39, v39, 1
	v_sub_f32_e32 v47, v47, v49
	v_add_f32_e32 v39, v39, v47
	v_add_f32_e32 v47, v48, v39
	v_sub_f32_e32 v48, v47, v48
	v_sub_f32_e32 v39, v39, v48
	v_add_f32_e32 v48, v40, v47
	v_sub_f32_e32 v49, v48, v40
	v_sub_f32_e32 v50, v48, v49
	;; [unrolled: 1-line block ×5, first 2 shown]
	v_add_f32_e32 v40, v47, v40
	v_add_f32_e32 v47, v46, v39
	v_sub_f32_e32 v49, v47, v46
	v_sub_f32_e32 v50, v47, v49
	;; [unrolled: 1-line block ×4, first 2 shown]
	v_add_f32_e32 v40, v47, v40
	v_add_f32_e32 v39, v39, v46
	;; [unrolled: 1-line block ×3, first 2 shown]
	v_sub_f32_e32 v47, v46, v48
	v_sub_f32_e32 v40, v40, v47
	v_add_f32_e32 v39, v39, v40
	v_add_f32_e32 v39, v46, v39
	v_cmp_neq_f32_e64 s[0:1], s7, v44
	v_cndmask_b32_e64 v39, v45, v39, s[0:1]
	s_mov_b32 s0, 0x33800000
	v_cmp_gt_f32_e64 s[0:1], s0, v44
	v_cndmask_b32_e64 v44, v39, v44, s[0:1]
.LBB5_4:
	s_or_b64 exec, exec, s[8:9]
	s_load_dwordx4 s[36:39], s[4:5], 0x70
	s_mul_i32 s4, s27, s6
	v_mul_f32_e32 v39, v44, v13
	s_mov_b32 s9, 0x3fb8aa3b
	v_mul_f32_e32 v40, v44, v14
	s_waitcnt lgkmcnt(0)
	s_mul_i32 s1, s6, s39
	s_mul_hi_u32 s5, s6, s38
	s_mul_i32 s0, s6, s38
	s_add_i32 s1, s5, s1
	s_lshl_b64 s[0:1], s[0:1], 4
	s_add_u32 s13, s22, s0
	s_addc_u32 s12, s23, s1
	s_ashr_i32 s18, s31, 2
	s_add_u32 s0, s10, s4
	s_addc_u32 s1, s11, 0
	s_add_u32 s4, s0, s2
	s_addc_u32 s5, s1, s3
	global_load_dword v49, v0, s[4:5]
	v_mul_f32_e32 v62, 0x3fb8aa3b, v39
	v_mul_f32_e32 v50, v44, v15
	;; [unrolled: 1-line block ×3, first 2 shown]
	v_fma_f32 v66, v39, s9, -v62
	v_rndne_f32_e32 v67, v62
	v_mul_f32_e32 v51, v44, v16
	v_mul_f32_e32 v64, 0x3fb8aa3b, v50
	v_fma_f32 v68, v40, s9, -v63
	v_rndne_f32_e32 v69, v63
	v_fmac_f32_e32 v66, 0x32a5705f, v39
	v_sub_f32_e32 v62, v62, v67
	v_mul_f32_e32 v65, 0x3fb8aa3b, v51
	v_fma_f32 v70, v50, s9, -v64
	v_rndne_f32_e32 v71, v64
	v_fmac_f32_e32 v68, 0x32a5705f, v40
	v_sub_f32_e32 v63, v63, v69
	v_add_f32_e32 v62, v62, v66
	v_fma_f32 v72, v51, s9, -v65
	v_rndne_f32_e32 v73, v65
	v_fmac_f32_e32 v70, 0x32a5705f, v50
	v_sub_f32_e32 v64, v64, v71
	v_cvt_i32_f32_e32 v67, v67
	v_add_f32_e32 v63, v63, v68
	v_exp_f32_e32 v62, v62
	v_fmac_f32_e32 v72, 0x32a5705f, v51
	v_sub_f32_e32 v65, v65, v73
	v_cvt_i32_f32_e32 v69, v69
	v_add_f32_e32 v64, v64, v70
	v_exp_f32_e32 v63, v63
	v_cvt_i32_f32_e32 v71, v71
	v_add_f32_e32 v65, v65, v72
	v_exp_f32_e32 v64, v64
	s_mov_b32 s7, 0xc2ce8ed0
	v_cvt_i32_f32_e32 v73, v73
	v_exp_f32_e32 v65, v65
	v_ldexp_f32 v62, v62, v67
	v_cmp_ngt_f32_e64 s[0:1], s7, v39
	v_ldexp_f32 v63, v63, v69
	v_cndmask_b32_e64 v62, 0, v62, s[0:1]
	v_cmp_ngt_f32_e64 s[0:1], s7, v40
	v_ldexp_f32 v64, v64, v71
	v_cndmask_b32_e64 v63, 0, v63, s[0:1]
	v_cmp_ngt_f32_e64 s[0:1], s7, v50
	v_mov_b32_e32 v52, 0
	s_mov_b32 s8, 0x42b17218
	v_ldexp_f32 v65, v65, v73
	v_cndmask_b32_e64 v64, 0, v64, s[0:1]
	v_cmp_ngt_f32_e64 s[0:1], s7, v51
	v_mov_b32_e32 v53, 0x7f800000
	ds_read_b128 v[45:48], v52
	ds_read_b128 v[54:57], v52 offset:16
	ds_read_b128 v[58:61], v52 offset:64
	v_cndmask_b32_e64 v65, 0, v65, s[0:1]
	v_cmp_nlt_f32_e64 s[0:1], s8, v39
	v_cndmask_b32_e64 v62, v53, v62, s[0:1]
	v_cmp_nlt_f32_e64 s[0:1], s8, v40
	;; [unrolled: 2-line block ×4, first 2 shown]
	v_cndmask_b32_e64 v51, v53, v65, s[0:1]
	v_mov_b32_e32 v40, s5
	s_add_u32 s2, s13, s2
	v_add_co_u32_e64 v39, s[0:1], s4, v0
	v_addc_co_u32_e64 v40, s[0:1], 0, v40, s[0:1]
	s_addc_u32 s3, s12, s3
	v_mov_b32_e32 v65, s3
	s_ashr_i32 s20, s41, 2
	s_ashr_i32 s19, s18, 31
	;; [unrolled: 1-line block ×3, first 2 shown]
	s_waitcnt vmcnt(0)
	v_mul_f32_e32 v69, v44, v49
	s_waitcnt lgkmcnt(2)
	v_mul_f32_e32 v47, v69, v47
	v_mul_f32_e32 v49, v69, v45
	;; [unrolled: 1-line block ×3, first 2 shown]
	v_fmac_f32_e32 v47, v31, v64
	v_mul_f32_e32 v31, v44, v9
	v_fmac_f32_e32 v45, v32, v51
	v_mul_f32_e32 v32, 0x3fb8aa3b, v31
	v_mul_f32_e32 v50, v69, v46
	v_fma_f32 v46, v31, s9, -v32
	v_rndne_f32_e32 v48, v32
	v_fmac_f32_e32 v46, 0x32a5705f, v31
	v_sub_f32_e32 v32, v32, v48
	v_add_f32_e32 v32, v32, v46
	v_exp_f32_e32 v32, v32
	v_cvt_i32_f32_e32 v46, v48
	v_fmac_f32_e32 v49, v29, v62
	v_add_co_u32_e64 v29, s[0:1], s2, v0
	v_ldexp_f32 v32, v32, v46
	v_mul_f32_e32 v46, v44, v10
	v_mul_f32_e32 v48, 0x3fb8aa3b, v46
	s_waitcnt lgkmcnt(0)
	v_fma_f32 v70, v58, v49, 0
	v_fma_f32 v51, v46, s9, -v48
	v_rndne_f32_e32 v58, v48
	v_fmac_f32_e32 v50, v30, v63
	v_addc_co_u32_e64 v30, s[0:1], 0, v65, s[0:1]
	v_fmac_f32_e32 v51, 0x32a5705f, v46
	v_sub_f32_e32 v48, v48, v58
	v_cmp_ngt_f32_e64 s[0:1], s7, v31
	v_add_f32_e32 v48, v48, v51
	v_cndmask_b32_e64 v32, 0, v32, s[0:1]
	v_exp_f32_e32 v48, v48
	v_cvt_i32_f32_e32 v58, v58
	v_cmp_nlt_f32_e64 s[0:1], s8, v31
	v_cndmask_b32_e64 v31, v53, v32, s[0:1]
	v_mul_f32_e32 v51, v69, v54
	v_fmac_f32_e32 v51, v25, v31
	v_mul_f32_e32 v31, v44, v11
	v_mul_f32_e32 v32, 0x3fb8aa3b, v31
	v_ldexp_f32 v25, v48, v58
	v_fma_f32 v48, v31, s9, -v32
	v_rndne_f32_e32 v54, v32
	v_fmac_f32_e32 v48, 0x32a5705f, v31
	v_sub_f32_e32 v32, v32, v54
	v_add_f32_e32 v32, v32, v48
	v_cmp_ngt_f32_e64 s[0:1], s7, v46
	v_exp_f32_e32 v32, v32
	v_cvt_i32_f32_e32 v48, v54
	v_cndmask_b32_e64 v25, 0, v25, s[0:1]
	v_cmp_nlt_f32_e64 s[0:1], s8, v46
	v_cndmask_b32_e64 v25, v53, v25, s[0:1]
	v_mul_f32_e32 v54, v69, v55
	v_fmac_f32_e32 v54, v26, v25
	v_mul_f32_e32 v26, v44, v12
	v_ldexp_f32 v25, v32, v48
	v_mul_f32_e32 v32, 0x3fb8aa3b, v26
	v_fma_f32 v46, v26, s9, -v32
	v_rndne_f32_e32 v48, v32
	v_fmac_f32_e32 v46, 0x32a5705f, v26
	v_sub_f32_e32 v32, v32, v48
	v_add_f32_e32 v32, v32, v46
	v_exp_f32_e32 v32, v32
	v_cvt_i32_f32_e32 v46, v48
	v_cmp_ngt_f32_e64 s[0:1], s7, v31
	v_cndmask_b32_e64 v25, 0, v25, s[0:1]
	v_cmp_nlt_f32_e64 s[0:1], s8, v31
	v_cndmask_b32_e64 v25, v53, v25, s[0:1]
	v_mul_f32_e32 v56, v69, v56
	v_fmac_f32_e32 v56, v27, v25
	v_ldexp_f32 v27, v32, v46
	v_cmp_ngt_f32_e64 s[0:1], s7, v26
	v_cndmask_b32_e64 v27, 0, v27, s[0:1]
	v_cmp_nlt_f32_e64 s[0:1], s8, v26
	v_mul_f32_e32 v25, v69, v57
	v_cndmask_b32_e64 v26, v53, v27, s[0:1]
	v_fmac_f32_e32 v25, v28, v26
	v_mul_f32_e32 v26, v44, v5
	v_mul_f32_e32 v27, 0x3fb8aa3b, v26
	v_fma_f32 v28, v26, s9, -v27
	v_rndne_f32_e32 v31, v27
	v_fmac_f32_e32 v28, 0x32a5705f, v26
	v_sub_f32_e32 v27, v27, v31
	v_add_f32_e32 v27, v27, v28
	v_exp_f32_e32 v27, v27
	v_cvt_i32_f32_e32 v28, v31
	ds_read_b128 v[62:65], v52 offset:80
	v_fmac_f32_e32 v70, v59, v50
	v_fmac_f32_e32 v70, v60, v47
	v_ldexp_f32 v27, v27, v28
	v_mul_f32_e32 v28, v44, v6
	ds_read_b128 v[57:60], v52 offset:32
	v_mul_f32_e32 v31, 0x3fb8aa3b, v28
	v_fma_f32 v32, v28, s9, -v31
	v_rndne_f32_e32 v46, v31
	v_fmac_f32_e32 v70, v61, v45
	v_fmac_f32_e32 v32, 0x32a5705f, v28
	v_sub_f32_e32 v31, v31, v46
	s_waitcnt lgkmcnt(1)
	v_fmac_f32_e32 v70, v62, v51
	v_cmp_ngt_f32_e64 s[0:1], s7, v26
	v_add_f32_e32 v31, v31, v32
	v_fmac_f32_e32 v70, v63, v54
	v_cndmask_b32_e64 v27, 0, v27, s[0:1]
	v_exp_f32_e32 v31, v31
	v_cvt_i32_f32_e32 v32, v46
	v_cmp_nlt_f32_e64 s[0:1], s8, v26
	v_fmac_f32_e32 v70, v64, v56
	v_cndmask_b32_e64 v26, v53, v27, s[0:1]
	ds_read_b128 v[61:64], v52 offset:48
	s_waitcnt lgkmcnt(1)
	v_mul_f32_e32 v46, v69, v57
	v_fmac_f32_e32 v46, v21, v26
	v_mul_f32_e32 v26, v44, v7
	v_mul_f32_e32 v27, 0x3fb8aa3b, v26
	v_ldexp_f32 v21, v31, v32
	v_fma_f32 v31, v26, s9, -v27
	v_rndne_f32_e32 v32, v27
	v_fmac_f32_e32 v31, 0x32a5705f, v26
	v_sub_f32_e32 v27, v27, v32
	v_add_f32_e32 v27, v27, v31
	v_exp_f32_e32 v27, v27
	v_cvt_i32_f32_e32 v31, v32
	v_cmp_ngt_f32_e64 s[0:1], s7, v28
	v_cndmask_b32_e64 v21, 0, v21, s[0:1]
	v_cmp_nlt_f32_e64 s[0:1], s8, v28
	v_cndmask_b32_e64 v21, v53, v21, s[0:1]
	v_mul_f32_e32 v48, v69, v58
	v_fmac_f32_e32 v48, v22, v21
	v_ldexp_f32 v21, v27, v31
	v_cmp_ngt_f32_e64 s[0:1], s7, v26
	v_mul_f32_e32 v22, v44, v8
	v_cndmask_b32_e64 v21, 0, v21, s[0:1]
	v_cmp_nlt_f32_e64 s[0:1], s8, v26
	v_mul_f32_e32 v26, 0x3fb8aa3b, v22
	v_fma_f32 v27, v22, s9, -v26
	v_rndne_f32_e32 v28, v26
	v_fmac_f32_e32 v27, 0x32a5705f, v22
	v_sub_f32_e32 v26, v26, v28
	v_add_f32_e32 v26, v26, v27
	v_exp_f32_e32 v27, v26
	v_cvt_i32_f32_e32 v28, v28
	v_cndmask_b32_e64 v21, v53, v21, s[0:1]
	v_mul_f32_e32 v32, v69, v59
	v_fmac_f32_e32 v32, v23, v21
	v_ldexp_f32 v21, v27, v28
	v_cmp_ngt_f32_e64 s[0:1], s7, v22
	v_cndmask_b32_e64 v21, 0, v21, s[0:1]
	v_cmp_nlt_f32_e64 s[0:1], s8, v22
	v_mul_f32_e32 v26, v69, v60
	v_cndmask_b32_e64 v21, v53, v21, s[0:1]
	v_fmac_f32_e32 v26, v24, v21
	v_mul_f32_e32 v21, v44, v1
	v_mul_f32_e32 v22, 0x3fb8aa3b, v21
	v_fma_f32 v23, v21, s9, -v22
	v_rndne_f32_e32 v24, v22
	v_fmac_f32_e32 v23, 0x32a5705f, v21
	v_sub_f32_e32 v22, v22, v24
	v_add_f32_e32 v22, v22, v23
	v_exp_f32_e32 v22, v22
	v_cvt_i32_f32_e32 v23, v24
	v_cmp_ngt_f32_e64 s[0:1], s7, v21
	v_fmac_f32_e32 v70, v65, v25
	ds_read_b128 v[57:60], v52 offset:96
	ds_read_b128 v[65:68], v52 offset:112
	v_ldexp_f32 v22, v22, v23
	v_mul_f32_e32 v23, v44, v2
	v_mul_f32_e32 v24, 0x3fb8aa3b, v23
	v_fma_f32 v27, v23, s9, -v24
	v_rndne_f32_e32 v28, v24
	v_fmac_f32_e32 v27, 0x32a5705f, v23
	v_sub_f32_e32 v24, v24, v28
	v_add_f32_e32 v24, v24, v27
	v_cndmask_b32_e64 v22, 0, v22, s[0:1]
	v_exp_f32_e32 v27, v24
	v_cvt_i32_f32_e32 v28, v28
	v_cmp_nlt_f32_e64 s[0:1], s8, v21
	v_cndmask_b32_e64 v21, v53, v22, s[0:1]
	s_waitcnt lgkmcnt(2)
	v_mul_f32_e32 v24, v69, v61
	v_fmac_f32_e32 v24, v17, v21
	v_mul_f32_e32 v21, v44, v3
	v_mul_f32_e32 v22, 0x3fb8aa3b, v21
	v_ldexp_f32 v17, v27, v28
	v_fma_f32 v27, v21, s9, -v22
	v_rndne_f32_e32 v28, v22
	v_fmac_f32_e32 v27, 0x32a5705f, v21
	v_sub_f32_e32 v22, v22, v28
	v_add_f32_e32 v22, v22, v27
	v_cmp_ngt_f32_e64 s[0:1], s7, v23
	v_exp_f32_e32 v22, v22
	v_cvt_i32_f32_e32 v27, v28
	v_cndmask_b32_e64 v17, 0, v17, s[0:1]
	v_cmp_nlt_f32_e64 s[0:1], s8, v23
	v_cndmask_b32_e64 v17, v53, v17, s[0:1]
	v_mul_f32_e32 v52, v69, v62
	v_fmac_f32_e32 v52, v18, v17
	v_mul_f32_e32 v18, v44, v4
	v_ldexp_f32 v17, v22, v27
	v_mul_f32_e32 v22, 0x3fb8aa3b, v18
	v_fma_f32 v23, v18, s9, -v22
	v_rndne_f32_e32 v27, v22
	v_fmac_f32_e32 v23, 0x32a5705f, v18
	v_sub_f32_e32 v22, v22, v27
	v_add_f32_e32 v22, v22, v23
	v_exp_f32_e32 v23, v22
	v_cvt_i32_f32_e32 v27, v27
	s_waitcnt lgkmcnt(1)
	v_fmac_f32_e32 v70, v57, v46
	v_cmp_ngt_f32_e64 s[0:1], s7, v21
	v_fmac_f32_e32 v70, v58, v48
	v_cndmask_b32_e64 v17, 0, v17, s[0:1]
	v_cmp_nlt_f32_e64 s[0:1], s8, v21
	v_fmac_f32_e32 v70, v59, v32
	v_cndmask_b32_e64 v17, v53, v17, s[0:1]
	v_mul_f32_e32 v22, v69, v63
	v_fmac_f32_e32 v70, v60, v26
	v_fmac_f32_e32 v22, v19, v17
	v_ldexp_f32 v17, v23, v27
	v_cmp_ngt_f32_e64 s[0:1], s7, v18
	s_waitcnt lgkmcnt(0)
	v_fmac_f32_e32 v70, v65, v24
	v_cndmask_b32_e64 v17, 0, v17, s[0:1]
	v_cmp_nlt_f32_e64 s[0:1], s8, v18
	v_fmac_f32_e32 v70, v66, v52
	v_cndmask_b32_e64 v17, v53, v17, s[0:1]
	v_mul_f32_e32 v21, v69, v64
	v_fmac_f32_e32 v70, v67, v22
	v_fmac_f32_e32 v21, v20, v17
	;; [unrolled: 1-line block ×3, first 2 shown]
	global_store_dword v0, v70, s[2:3]
	s_waitcnt vmcnt(0)
	s_barrier
	s_and_saveexec_b64 s[2:3], vcc
	s_cbranch_execz .LBB5_6
; %bb.5:
	s_lshl_b64 s[0:1], s[18:19], 2
	v_mov_b32_e32 v18, s1
	v_add_co_u32_e64 v17, s[0:1], s0, v35
	v_addc_co_u32_e64 v18, s[0:1], v36, v18, s[0:1]
	s_lshl_b64 s[0:1], s[20:21], 2
	global_load_dword v19, v[17:18], off
	v_mov_b32_e32 v18, s1
	v_add_co_u32_e64 v17, s[0:1], s0, v37
	v_addc_co_u32_e64 v18, s[0:1], v38, v18, s[0:1]
	global_load_dword v17, v[17:18], off
	s_waitcnt vmcnt(1)
	ds_write_b32 v0, v19
	s_waitcnt vmcnt(0)
	ds_write_b32 v41, v17
.LBB5_6:
	s_or_b64 exec, exec, s[2:3]
	s_ashr_i32 s0, s28, 2
	s_ashr_i32 s1, s0, 31
	s_lshl_b64 s[28:29], s[0:1], 2
	v_mov_b32_e32 v18, s29
	v_add_co_u32_e64 v17, s[0:1], s28, v42
	v_addc_co_u32_e64 v18, s[0:1], v43, v18, s[0:1]
	s_waitcnt lgkmcnt(0)
	s_barrier
	global_load_dword v23, v[17:18], off
	s_mov_b32 s0, 0x41a00000
	s_waitcnt vmcnt(0)
	v_cmp_ge_f32_e64 s[0:1], s0, v23
	s_and_saveexec_b64 s[2:3], s[0:1]
	s_cbranch_execz .LBB5_8
; %bb.7:
	v_mul_f32_e32 v19, 0x3fb8aa3b, v23
	s_mov_b32 s0, 0x3fb8aa3b
	v_rndne_f32_e32 v20, v19
	v_sub_f32_e32 v27, v19, v20
	v_fma_f32 v19, v23, s0, -v19
	v_fmac_f32_e32 v19, 0x32a5705f, v23
	v_add_f32_e32 v19, v27, v19
	v_exp_f32_e32 v19, v19
	v_cvt_i32_f32_e32 v20, v20
	s_mov_b32 s0, 0xc2ce8ed0
	v_cmp_ngt_f32_e64 s[0:1], s0, v23
	v_mov_b32_e32 v27, 0x7f800000
	v_ldexp_f32 v19, v19, v20
	v_cndmask_b32_e64 v19, 0, v19, s[0:1]
	s_mov_b32 s0, 0x42b17218
	v_cmp_nlt_f32_e64 s[0:1], s0, v23
	v_cndmask_b32_e64 v23, v27, v19, s[0:1]
	v_add_f32_e32 v28, 1.0, v23
	v_cvt_f64_f32_e32 v[19:20], v28
	v_add_f32_e32 v31, -1.0, v28
	v_sub_f32_e32 v42, v31, v28
	v_sub_f32_e32 v31, v23, v31
	v_frexp_exp_i32_f64_e32 v19, v[19:20]
	v_add_f32_e32 v20, 1.0, v42
	v_add_f32_e32 v20, v31, v20
	v_frexp_mant_f32_e32 v31, v28
	s_mov_b32 s0, 0x3f2aaaab
	v_cmp_gt_f32_e64 s[0:1], s0, v31
	s_mov_b32 s4, 0x7f800000
	v_subbrev_co_u32_e64 v19, s[0:1], 0, v19, s[0:1]
	v_sub_u32_e32 v31, 0, v19
	v_ldexp_f32 v28, v28, v31
	v_ldexp_f32 v20, v20, v31
	v_add_f32_e32 v31, -1.0, v28
	v_add_f32_e32 v44, 1.0, v28
	v_add_f32_e32 v42, 1.0, v31
	v_add_f32_e32 v53, -1.0, v44
	v_sub_f32_e32 v42, v28, v42
	v_sub_f32_e32 v28, v28, v53
	v_add_f32_e32 v42, v20, v42
	v_add_f32_e32 v20, v20, v28
	;; [unrolled: 1-line block ×3, first 2 shown]
	v_rcp_f32_e32 v53, v28
	v_add_f32_e32 v43, v31, v42
	v_sub_f32_e32 v31, v31, v43
	v_add_f32_e32 v31, v42, v31
	v_sub_f32_e32 v42, v44, v28
	v_add_f32_e32 v20, v20, v42
	v_mul_f32_e32 v42, v43, v53
	v_mul_f32_e32 v44, v28, v42
	v_fma_f32 v55, v42, v28, -v44
	v_fmac_f32_e32 v55, v42, v20
	v_add_f32_e32 v57, v44, v55
	v_sub_f32_e32 v58, v43, v57
	v_sub_f32_e32 v43, v43, v58
	;; [unrolled: 1-line block ×4, first 2 shown]
	v_add_f32_e32 v31, v31, v43
	v_sub_f32_e32 v43, v44, v55
	v_add_f32_e32 v31, v43, v31
	v_add_f32_e32 v43, v58, v31
	v_mul_f32_e32 v44, v53, v43
	v_mul_f32_e32 v55, v28, v44
	v_fma_f32 v28, v44, v28, -v55
	v_fmac_f32_e32 v28, v44, v20
	v_sub_f32_e32 v20, v58, v43
	v_add_f32_e32 v20, v31, v20
	v_add_f32_e32 v31, v55, v28
	v_sub_f32_e32 v57, v43, v31
	v_sub_f32_e32 v43, v43, v57
	;; [unrolled: 1-line block ×4, first 2 shown]
	v_add_f32_e32 v20, v20, v31
	v_sub_f32_e32 v28, v55, v28
	v_add_f32_e32 v20, v28, v20
	v_add_f32_e32 v28, v42, v44
	;; [unrolled: 1-line block ×3, first 2 shown]
	v_sub_f32_e32 v31, v28, v42
	v_mul_f32_e32 v20, v53, v20
	v_sub_f32_e32 v31, v44, v31
	v_add_f32_e32 v20, v31, v20
	v_cvt_f32_i32_e32 v19, v19
	v_add_f32_e32 v31, v28, v20
	v_mul_f32_e32 v42, v31, v31
	v_mov_b32_e32 v43, 0x3ecc95a3
	v_fmac_f32_e32 v43, 0x3e9b6dac, v42
	v_mov_b32_e32 v44, 0x3f2aaada
	v_fmac_f32_e32 v44, v42, v43
	s_mov_b32 s0, 0x3f317218
	v_mul_f32_e32 v43, 0x3f317218, v19
	v_fma_f32 v53, v19, s0, -v43
	v_fmac_f32_e32 v53, 0xb102e308, v19
	v_sub_f32_e32 v19, v31, v28
	v_sub_f32_e32 v19, v20, v19
	v_add_f32_e32 v20, v43, v53
	v_sub_f32_e32 v28, v20, v43
	v_ldexp_f32 v43, v31, 1
	v_mul_f32_e32 v31, v31, v42
	v_mul_f32_e32 v31, v31, v44
	v_add_f32_e32 v42, v43, v31
	v_sub_f32_e32 v43, v42, v43
	v_ldexp_f32 v19, v19, 1
	v_sub_f32_e32 v31, v31, v43
	v_add_f32_e32 v19, v19, v31
	v_add_f32_e32 v31, v42, v19
	v_sub_f32_e32 v42, v31, v42
	v_sub_f32_e32 v19, v19, v42
	v_add_f32_e32 v42, v20, v31
	v_sub_f32_e32 v43, v42, v20
	v_sub_f32_e32 v44, v42, v43
	;; [unrolled: 1-line block ×5, first 2 shown]
	v_add_f32_e32 v20, v31, v20
	v_add_f32_e32 v31, v28, v19
	v_sub_f32_e32 v43, v31, v28
	v_sub_f32_e32 v44, v31, v43
	;; [unrolled: 1-line block ×4, first 2 shown]
	v_add_f32_e32 v20, v31, v20
	v_add_f32_e32 v19, v19, v28
	;; [unrolled: 1-line block ×3, first 2 shown]
	v_sub_f32_e32 v31, v28, v42
	v_sub_f32_e32 v20, v20, v31
	v_add_f32_e32 v19, v19, v20
	v_add_f32_e32 v19, v28, v19
	v_cmp_neq_f32_e64 s[0:1], s4, v23
	v_cndmask_b32_e64 v19, v27, v19, s[0:1]
	s_mov_b32 s0, 0x33800000
	v_cmp_gt_f32_e64 s[0:1], s0, v23
	v_cndmask_b32_e64 v23, v19, v23, s[0:1]
.LBB5_8:
	s_or_b64 exec, exec, s[2:3]
	s_ashr_i32 s26, s26, 2
	s_ashr_i32 s27, s26, 31
	s_lshl_b64 s[30:31], s[26:27], 2
	v_add_co_u32_e64 v19, s[0:1], s30, v39
	v_mov_b32_e32 v20, s31
	v_addc_co_u32_e64 v20, s[0:1], v40, v20, s[0:1]
	global_load_dword v27, v[19:20], off
	v_mov_b32_e32 v53, 0
	ds_read_b128 v[57:60], v53
	v_mul_f32_e32 v28, v23, v13
	s_mov_b32 s7, 0x3fb8aa3b
	v_mul_f32_e32 v61, v23, v14
	v_mul_f32_e32 v62, v23, v15
	;; [unrolled: 1-line block ×3, first 2 shown]
	s_mov_b32 s24, 0xc2ce8ed0
	s_mov_b32 s27, 0x42b17218
	v_mul_f32_e32 v63, v23, v16
	v_cmp_ngt_f32_e64 s[10:11], s24, v28
	v_cmp_nlt_f32_e64 s[4:5], s27, v28
	v_cmp_ngt_f32_e64 s[16:17], s24, v61
	v_cmp_nlt_f32_e64 s[14:15], s27, v61
	;; [unrolled: 2-line block ×4, first 2 shown]
	s_waitcnt vmcnt(0)
	v_mul_f32_e32 v55, v23, v27
	s_waitcnt lgkmcnt(0)
	v_mul_f32_e32 v44, v55, v57
	v_mul_f32_e32 v43, v55, v58
	;; [unrolled: 1-line block ×4, first 2 shown]
	v_fma_f32 v58, v28, s7, -v64
	v_mul_f32_e32 v42, v55, v59
	v_mul_f32_e32 v31, v55, v60
	v_fmac_f32_e32 v58, 0x32a5705f, v28
	v_fma_f32 v28, v61, s7, -v27
	v_fma_f32 v59, v62, s7, -v57
	v_mul_f32_e32 v60, 0x3fb8aa3b, v63
	v_fmac_f32_e32 v28, 0x32a5705f, v61
	v_fmac_f32_e32 v59, 0x32a5705f, v62
	v_fma_f32 v61, v63, s7, -v60
	v_rndne_f32_e32 v62, v64
	v_fmac_f32_e32 v61, 0x32a5705f, v63
	v_sub_f32_e32 v63, v64, v62
	v_add_f32_e32 v58, v63, v58
	v_rndne_f32_e32 v63, v27
	v_sub_f32_e32 v27, v27, v63
	v_add_f32_e32 v27, v27, v28
	v_rndne_f32_e32 v28, v57
	;; [unrolled: 3-line block ×3, first 2 shown]
	v_sub_f32_e32 v60, v60, v59
	v_mul_f32_e32 v64, v23, v9
	v_add_f32_e32 v60, v60, v61
	v_mul_f32_e32 v61, 0x3fb8aa3b, v64
	v_fma_f32 v65, v64, s7, -v61
	v_rndne_f32_e32 v66, v61
	v_fmac_f32_e32 v65, 0x32a5705f, v64
	v_sub_f32_e32 v61, v61, v66
	v_add_f32_e32 v65, v61, v65
	v_cvt_i32_f32_e32 v61, v62
	v_exp_f32_e32 v58, v58
	v_cvt_i32_f32_e32 v28, v28
	v_exp_f32_e32 v57, v57
	v_exp_f32_e32 v27, v27
	v_ldexp_f32 v58, v58, v61
	v_cvt_i32_f32_e32 v61, v63
	v_ldexp_f32 v28, v57, v28
	v_cvt_i32_f32_e32 v57, v59
	v_exp_f32_e32 v59, v60
	v_ldexp_f32 v27, v27, v61
	v_cndmask_b32_e64 v58, 0, v58, s[10:11]
	v_cndmask_b32_e64 v27, 0, v27, s[16:17]
	v_ldexp_f32 v62, v59, v57
	v_mov_b32_e32 v57, 0x7f800000
	v_cndmask_b32_e64 v58, v57, v58, s[4:5]
	v_cndmask_b32_e64 v28, 0, v28, s[2:3]
	;; [unrolled: 1-line block ×3, first 2 shown]
	v_fmac_f32_e32 v44, v49, v58
	ds_read_b128 v[58:61], v53 offset:64
	v_cndmask_b32_e64 v28, v57, v28, s[0:1]
	v_fmac_f32_e32 v43, v50, v27
	v_exp_f32_e32 v27, v65
	v_fmac_f32_e32 v42, v47, v28
	v_cvt_i32_f32_e32 v28, v66
	v_cndmask_b32_e64 v49, 0, v62, s[12:13]
	v_cndmask_b32_e64 v49, v57, v49, s[8:9]
	s_waitcnt lgkmcnt(0)
	v_fma_f32 v58, v58, v44, 0
	v_ldexp_f32 v27, v27, v28
	v_mul_f32_e32 v28, v23, v10
	v_fmac_f32_e32 v58, v59, v43
	v_fmac_f32_e32 v31, v45, v49
	v_mul_f32_e32 v45, 0x3fb8aa3b, v28
	v_fmac_f32_e32 v58, v60, v42
	v_fma_f32 v47, v28, s7, -v45
	v_rndne_f32_e32 v49, v45
	v_fmac_f32_e32 v58, v61, v31
	ds_read_b128 v[59:62], v53 offset:16
	v_fmac_f32_e32 v47, 0x32a5705f, v28
	v_sub_f32_e32 v45, v45, v49
	v_add_f32_e32 v45, v45, v47
	v_exp_f32_e32 v47, v45
	v_cvt_i32_f32_e32 v49, v49
	v_cmp_ngt_f32_e64 s[0:1], s24, v64
	v_cndmask_b32_e64 v27, 0, v27, s[0:1]
	v_cmp_nlt_f32_e64 s[0:1], s27, v64
	v_cndmask_b32_e64 v27, v57, v27, s[0:1]
	ds_read_b128 v[63:66], v53 offset:80
	s_waitcnt lgkmcnt(1)
	v_mul_f32_e32 v45, v55, v59
	v_fmac_f32_e32 v45, v51, v27
	v_ldexp_f32 v27, v47, v49
	v_cmp_ngt_f32_e64 s[0:1], s24, v28
	v_mul_f32_e32 v47, v23, v11
	v_cndmask_b32_e64 v27, 0, v27, s[0:1]
	v_cmp_nlt_f32_e64 s[0:1], s27, v28
	v_mul_f32_e32 v28, 0x3fb8aa3b, v47
	v_fma_f32 v49, v47, s7, -v28
	v_rndne_f32_e32 v50, v28
	v_fmac_f32_e32 v49, 0x32a5705f, v47
	v_sub_f32_e32 v28, v28, v50
	v_add_f32_e32 v28, v28, v49
	v_exp_f32_e32 v49, v28
	v_cvt_i32_f32_e32 v50, v50
	v_cndmask_b32_e64 v27, v57, v27, s[0:1]
	v_mul_f32_e32 v28, v55, v60
	v_fmac_f32_e32 v28, v54, v27
	v_ldexp_f32 v27, v49, v50
	v_cmp_ngt_f32_e64 s[0:1], s24, v47
	v_cndmask_b32_e64 v27, 0, v27, s[0:1]
	v_cmp_nlt_f32_e64 s[0:1], s27, v47
	v_mul_f32_e32 v47, v23, v12
	v_mul_f32_e32 v49, 0x3fb8aa3b, v47
	v_fma_f32 v50, v47, s7, -v49
	v_rndne_f32_e32 v51, v49
	v_fmac_f32_e32 v50, 0x32a5705f, v47
	v_sub_f32_e32 v49, v49, v51
	v_add_f32_e32 v49, v49, v50
	v_exp_f32_e32 v49, v49
	v_cvt_i32_f32_e32 v50, v51
	v_cndmask_b32_e64 v51, v57, v27, s[0:1]
	v_mul_f32_e32 v27, v55, v61
	v_fmac_f32_e32 v27, v56, v51
	v_ldexp_f32 v49, v49, v50
	v_mul_f32_e32 v50, v23, v5
	v_mul_f32_e32 v51, 0x3fb8aa3b, v50
	v_fma_f32 v54, v50, s7, -v51
	v_rndne_f32_e32 v56, v51
	v_fmac_f32_e32 v54, 0x32a5705f, v50
	v_sub_f32_e32 v51, v51, v56
	v_add_f32_e32 v51, v51, v54
	v_exp_f32_e32 v51, v51
	v_cvt_i32_f32_e32 v54, v56
	v_cmp_ngt_f32_e64 s[0:1], s24, v47
	v_cndmask_b32_e64 v49, 0, v49, s[0:1]
	v_cmp_nlt_f32_e64 s[0:1], s27, v47
	v_cndmask_b32_e64 v49, v57, v49, s[0:1]
	v_mul_f32_e32 v47, v55, v62
	v_fmac_f32_e32 v47, v25, v49
	v_ldexp_f32 v25, v51, v54
	v_cmp_ngt_f32_e64 s[0:1], s24, v50
	v_mul_f32_e32 v49, v23, v6
	v_cndmask_b32_e64 v25, 0, v25, s[0:1]
	v_cmp_nlt_f32_e64 s[0:1], s27, v50
	v_mul_f32_e32 v50, 0x3fb8aa3b, v49
	v_fma_f32 v51, v49, s7, -v50
	v_rndne_f32_e32 v54, v50
	ds_read_b128 v[59:62], v53 offset:32
	v_fmac_f32_e32 v51, 0x32a5705f, v49
	v_sub_f32_e32 v50, v50, v54
	v_add_f32_e32 v50, v50, v51
	s_waitcnt lgkmcnt(1)
	v_fmac_f32_e32 v58, v63, v45
	v_exp_f32_e32 v50, v50
	v_cvt_i32_f32_e32 v54, v54
	v_fmac_f32_e32 v58, v64, v28
	v_fmac_f32_e32 v58, v65, v27
	;; [unrolled: 1-line block ×3, first 2 shown]
	v_cndmask_b32_e64 v25, v57, v25, s[0:1]
	ds_read_b128 v[63:66], v53 offset:96
	s_waitcnt lgkmcnt(1)
	v_mul_f32_e32 v51, v55, v59
	v_fmac_f32_e32 v51, v46, v25
	v_ldexp_f32 v25, v50, v54
	v_cmp_ngt_f32_e64 s[0:1], s24, v49
	v_mul_f32_e32 v46, v23, v7
	v_cndmask_b32_e64 v25, 0, v25, s[0:1]
	v_cmp_nlt_f32_e64 s[0:1], s27, v49
	v_mul_f32_e32 v49, 0x3fb8aa3b, v46
	v_fma_f32 v50, v46, s7, -v49
	v_rndne_f32_e32 v54, v49
	v_fmac_f32_e32 v50, 0x32a5705f, v46
	v_sub_f32_e32 v49, v49, v54
	v_add_f32_e32 v49, v49, v50
	v_exp_f32_e32 v49, v49
	v_cvt_i32_f32_e32 v54, v54
	v_cndmask_b32_e64 v25, v57, v25, s[0:1]
	v_mul_f32_e32 v50, v55, v60
	v_fmac_f32_e32 v50, v48, v25
	v_ldexp_f32 v25, v49, v54
	v_cmp_ngt_f32_e64 s[0:1], s24, v46
	v_cndmask_b32_e64 v25, 0, v25, s[0:1]
	v_cmp_nlt_f32_e64 s[0:1], s27, v46
	v_mul_f32_e32 v46, v23, v8
	v_mul_f32_e32 v48, 0x3fb8aa3b, v46
	v_fma_f32 v49, v46, s7, -v48
	v_rndne_f32_e32 v54, v48
	v_fmac_f32_e32 v49, 0x32a5705f, v46
	v_sub_f32_e32 v48, v48, v54
	v_add_f32_e32 v48, v48, v49
	v_exp_f32_e32 v48, v48
	v_cvt_i32_f32_e32 v54, v54
	v_cndmask_b32_e64 v25, v57, v25, s[0:1]
	v_mul_f32_e32 v49, v55, v61
	v_fmac_f32_e32 v49, v32, v25
	v_ldexp_f32 v25, v48, v54
	v_cmp_ngt_f32_e64 s[0:1], s24, v46
	v_mul_f32_e32 v32, v23, v1
	v_cndmask_b32_e64 v25, 0, v25, s[0:1]
	v_cmp_nlt_f32_e64 s[0:1], s27, v46
	v_mul_f32_e32 v46, 0x3fb8aa3b, v32
	v_fma_f32 v54, v32, s7, -v46
	v_rndne_f32_e32 v56, v46
	v_fmac_f32_e32 v54, 0x32a5705f, v32
	v_sub_f32_e32 v46, v46, v56
	v_add_f32_e32 v46, v46, v54
	v_exp_f32_e32 v46, v46
	v_cvt_i32_f32_e32 v54, v56
	v_cndmask_b32_e64 v25, v57, v25, s[0:1]
	v_mul_f32_e32 v48, v55, v62
	v_fmac_f32_e32 v48, v26, v25
	v_ldexp_f32 v25, v46, v54
	v_cmp_ngt_f32_e64 s[0:1], s24, v32
	v_mul_f32_e32 v26, v23, v2
	v_cndmask_b32_e64 v25, 0, v25, s[0:1]
	v_cmp_nlt_f32_e64 s[0:1], s27, v32
	v_mul_f32_e32 v32, 0x3fb8aa3b, v26
	v_fma_f32 v46, v26, s7, -v32
	v_rndne_f32_e32 v54, v32
	ds_read_b128 v[59:62], v53 offset:48
	v_fmac_f32_e32 v46, 0x32a5705f, v26
	v_sub_f32_e32 v32, v32, v54
	v_add_f32_e32 v32, v32, v46
	s_waitcnt lgkmcnt(1)
	v_fmac_f32_e32 v58, v63, v51
	v_exp_f32_e32 v32, v32
	v_cvt_i32_f32_e32 v46, v54
	v_fmac_f32_e32 v58, v64, v50
	v_fmac_f32_e32 v58, v65, v49
	;; [unrolled: 1-line block ×3, first 2 shown]
	v_cndmask_b32_e64 v25, v57, v25, s[0:1]
	ds_read_b128 v[63:66], v53 offset:112
	s_waitcnt lgkmcnt(1)
	v_mul_f32_e32 v54, v55, v59
	v_fmac_f32_e32 v54, v24, v25
	v_ldexp_f32 v24, v32, v46
	v_cmp_ngt_f32_e64 s[0:1], s24, v26
	v_mul_f32_e32 v25, v23, v3
	v_cndmask_b32_e64 v24, 0, v24, s[0:1]
	v_cmp_nlt_f32_e64 s[0:1], s27, v26
	v_mul_f32_e32 v26, 0x3fb8aa3b, v25
	v_fma_f32 v32, v25, s7, -v26
	v_rndne_f32_e32 v46, v26
	v_fmac_f32_e32 v32, 0x32a5705f, v25
	v_sub_f32_e32 v26, v26, v46
	v_add_f32_e32 v26, v26, v32
	v_exp_f32_e32 v26, v26
	v_cvt_i32_f32_e32 v46, v46
	v_cndmask_b32_e64 v24, v57, v24, s[0:1]
	v_mul_f32_e32 v32, v55, v60
	v_fmac_f32_e32 v32, v52, v24
	v_ldexp_f32 v24, v26, v46
	v_cmp_ngt_f32_e64 s[0:1], s24, v25
	v_cndmask_b32_e64 v24, 0, v24, s[0:1]
	v_cmp_nlt_f32_e64 s[0:1], s27, v25
	v_cndmask_b32_e64 v24, v57, v24, s[0:1]
	v_mul_f32_e32 v53, v55, v61
	v_fmac_f32_e32 v53, v22, v24
	v_mul_f32_e32 v22, v23, v4
	v_mul_f32_e32 v23, 0x3fb8aa3b, v22
	v_fma_f32 v24, v22, s7, -v23
	v_rndne_f32_e32 v25, v23
	v_fmac_f32_e32 v24, 0x32a5705f, v22
	v_sub_f32_e32 v23, v23, v25
	v_add_f32_e32 v23, v23, v24
	v_exp_f32_e32 v23, v23
	v_cvt_i32_f32_e32 v24, v25
	v_cmp_ngt_f32_e64 s[0:1], s24, v22
	s_mov_b32 s2, 0
	s_mov_b32 s3, s38
	v_ldexp_f32 v23, v23, v24
	s_waitcnt lgkmcnt(0)
	v_fmac_f32_e32 v58, v63, v54
	v_cndmask_b32_e64 v23, 0, v23, s[0:1]
	v_cmp_nlt_f32_e64 s[0:1], s27, v22
	v_fmac_f32_e32 v58, v64, v32
	v_cndmask_b32_e64 v22, v57, v23, s[0:1]
	v_mul_f32_e32 v52, v55, v62
	s_ashr_i64 s[4:5], s[2:3], 30
	v_fmac_f32_e32 v58, v65, v53
	v_fmac_f32_e32 v52, v21, v22
	v_add_co_u32_e64 v21, s[0:1], s4, v29
	v_mov_b32_e32 v22, s5
	v_fmac_f32_e32 v58, v66, v52
	v_addc_co_u32_e64 v22, s[0:1], v30, v22, s[0:1]
	global_store_dword v[21:22], v58, off
	s_waitcnt vmcnt(0)
	s_barrier
	s_and_saveexec_b64 s[4:5], vcc
	s_cbranch_execz .LBB5_10
; %bb.9:
	s_lshl_b64 s[0:1], s[18:19], 3
	v_mov_b32_e32 v22, s1
	v_add_co_u32_e64 v21, s[0:1], s0, v35
	v_addc_co_u32_e64 v22, s[0:1], v36, v22, s[0:1]
	s_lshl_b64 s[0:1], s[20:21], 3
	global_load_dword v23, v[21:22], off
	v_mov_b32_e32 v22, s1
	v_add_co_u32_e64 v21, s[0:1], s0, v37
	v_addc_co_u32_e64 v22, s[0:1], v38, v22, s[0:1]
	global_load_dword v21, v[21:22], off
	s_waitcnt vmcnt(1)
	ds_write_b32 v0, v23
	s_waitcnt vmcnt(0)
	ds_write_b32 v41, v21
.LBB5_10:
	s_or_b64 exec, exec, s[4:5]
	v_mov_b32_e32 v21, s29
	v_add_co_u32_e64 v25, s[0:1], s28, v17
	v_addc_co_u32_e64 v26, s[0:1], v18, v21, s[0:1]
	s_waitcnt lgkmcnt(0)
	s_barrier
	global_load_dword v55, v[25:26], off
	s_mov_b32 s0, 0x41a00000
	s_waitcnt vmcnt(0)
	v_cmp_ge_f32_e64 s[0:1], s0, v55
	s_and_saveexec_b64 s[4:5], s[0:1]
	s_cbranch_execz .LBB5_12
; %bb.11:
	v_mul_f32_e32 v17, 0x3fb8aa3b, v55
	s_mov_b32 s0, 0x3fb8aa3b
	v_rndne_f32_e32 v18, v17
	v_sub_f32_e32 v21, v17, v18
	v_fma_f32 v17, v55, s0, -v17
	v_fmac_f32_e32 v17, 0x32a5705f, v55
	v_add_f32_e32 v17, v21, v17
	v_exp_f32_e32 v17, v17
	v_cvt_i32_f32_e32 v18, v18
	s_mov_b32 s0, 0xc2ce8ed0
	v_cmp_ngt_f32_e64 s[0:1], s0, v55
	v_mov_b32_e32 v21, 0x7f800000
	v_ldexp_f32 v17, v17, v18
	v_cndmask_b32_e64 v17, 0, v17, s[0:1]
	s_mov_b32 s0, 0x42b17218
	v_cmp_nlt_f32_e64 s[0:1], s0, v55
	v_cndmask_b32_e64 v22, v21, v17, s[0:1]
	v_add_f32_e32 v23, 1.0, v22
	v_cvt_f64_f32_e32 v[17:18], v23
	v_add_f32_e32 v24, -1.0, v23
	v_sub_f32_e32 v46, v24, v23
	v_sub_f32_e32 v24, v22, v24
	v_frexp_exp_i32_f64_e32 v17, v[17:18]
	v_add_f32_e32 v18, 1.0, v46
	v_add_f32_e32 v18, v24, v18
	v_frexp_mant_f32_e32 v24, v23
	s_mov_b32 s0, 0x3f2aaaab
	v_cmp_gt_f32_e64 s[0:1], s0, v24
	s_mov_b32 s7, 0x7f800000
	v_subbrev_co_u32_e64 v17, s[0:1], 0, v17, s[0:1]
	v_sub_u32_e32 v24, 0, v17
	v_ldexp_f32 v23, v23, v24
	v_ldexp_f32 v18, v18, v24
	v_add_f32_e32 v24, -1.0, v23
	v_add_f32_e32 v56, 1.0, v23
	v_add_f32_e32 v46, 1.0, v24
	v_add_f32_e32 v57, -1.0, v56
	v_sub_f32_e32 v46, v23, v46
	v_sub_f32_e32 v23, v23, v57
	v_add_f32_e32 v46, v18, v46
	v_add_f32_e32 v18, v18, v23
	;; [unrolled: 1-line block ×3, first 2 shown]
	v_rcp_f32_e32 v57, v23
	v_add_f32_e32 v55, v24, v46
	v_sub_f32_e32 v24, v24, v55
	v_add_f32_e32 v24, v46, v24
	v_sub_f32_e32 v46, v56, v23
	v_add_f32_e32 v18, v18, v46
	v_mul_f32_e32 v46, v55, v57
	v_mul_f32_e32 v56, v23, v46
	v_fma_f32 v58, v46, v23, -v56
	v_fmac_f32_e32 v58, v46, v18
	v_add_f32_e32 v59, v56, v58
	v_sub_f32_e32 v60, v55, v59
	v_sub_f32_e32 v55, v55, v60
	;; [unrolled: 1-line block ×4, first 2 shown]
	v_add_f32_e32 v24, v24, v55
	v_sub_f32_e32 v55, v56, v58
	v_add_f32_e32 v24, v55, v24
	v_add_f32_e32 v55, v60, v24
	v_mul_f32_e32 v56, v57, v55
	v_mul_f32_e32 v58, v23, v56
	v_fma_f32 v23, v56, v23, -v58
	v_fmac_f32_e32 v23, v56, v18
	v_sub_f32_e32 v18, v60, v55
	v_add_f32_e32 v18, v24, v18
	v_add_f32_e32 v24, v58, v23
	v_sub_f32_e32 v59, v55, v24
	v_sub_f32_e32 v55, v55, v59
	;; [unrolled: 1-line block ×4, first 2 shown]
	v_add_f32_e32 v18, v18, v24
	v_sub_f32_e32 v23, v58, v23
	v_add_f32_e32 v18, v23, v18
	v_add_f32_e32 v23, v46, v56
	;; [unrolled: 1-line block ×3, first 2 shown]
	v_sub_f32_e32 v24, v23, v46
	v_mul_f32_e32 v18, v57, v18
	v_sub_f32_e32 v24, v56, v24
	v_add_f32_e32 v18, v24, v18
	v_cvt_f32_i32_e32 v17, v17
	v_add_f32_e32 v24, v23, v18
	v_mul_f32_e32 v46, v24, v24
	v_mov_b32_e32 v55, 0x3ecc95a3
	v_fmac_f32_e32 v55, 0x3e9b6dac, v46
	v_mov_b32_e32 v56, 0x3f2aaada
	v_fmac_f32_e32 v56, v46, v55
	s_mov_b32 s0, 0x3f317218
	v_mul_f32_e32 v55, 0x3f317218, v17
	v_fma_f32 v57, v17, s0, -v55
	v_fmac_f32_e32 v57, 0xb102e308, v17
	v_sub_f32_e32 v17, v24, v23
	v_sub_f32_e32 v17, v18, v17
	v_add_f32_e32 v18, v55, v57
	v_sub_f32_e32 v23, v18, v55
	v_ldexp_f32 v55, v24, 1
	v_mul_f32_e32 v24, v24, v46
	v_mul_f32_e32 v24, v24, v56
	v_add_f32_e32 v46, v55, v24
	v_sub_f32_e32 v55, v46, v55
	v_ldexp_f32 v17, v17, 1
	v_sub_f32_e32 v24, v24, v55
	v_add_f32_e32 v17, v17, v24
	v_add_f32_e32 v24, v46, v17
	v_sub_f32_e32 v46, v24, v46
	v_sub_f32_e32 v17, v17, v46
	v_add_f32_e32 v46, v18, v24
	v_sub_f32_e32 v55, v46, v18
	v_sub_f32_e32 v56, v46, v55
	;; [unrolled: 1-line block ×5, first 2 shown]
	v_add_f32_e32 v18, v24, v18
	v_add_f32_e32 v24, v23, v17
	v_sub_f32_e32 v55, v24, v23
	v_sub_f32_e32 v56, v24, v55
	;; [unrolled: 1-line block ×4, first 2 shown]
	v_add_f32_e32 v18, v24, v18
	v_add_f32_e32 v17, v17, v23
	;; [unrolled: 1-line block ×3, first 2 shown]
	v_sub_f32_e32 v24, v23, v46
	v_sub_f32_e32 v18, v18, v24
	v_add_f32_e32 v17, v17, v18
	v_add_f32_e32 v17, v23, v17
	v_cmp_neq_f32_e64 s[0:1], s7, v22
	v_cndmask_b32_e64 v17, v21, v17, s[0:1]
	s_mov_b32 s0, 0x33800000
	v_cmp_gt_f32_e64 s[0:1], s0, v22
	v_cndmask_b32_e64 v55, v17, v22, s[0:1]
.LBB5_12:
	s_or_b64 exec, exec, s[4:5]
	v_add_co_u32_e64 v17, s[0:1], s30, v19
	v_mov_b32_e32 v18, s31
	v_addc_co_u32_e64 v18, s[0:1], v20, v18, s[0:1]
	global_load_dword v17, v[17:18], off
	s_mov_b32 s4, 0x3fb8aa3b
	s_mov_b32 s5, 0xc2ce8ed0
	s_mov_b32 s7, 0x42b17218
	v_mov_b32_e32 v58, 0x7f800000
	v_mov_b32_e32 v59, 0
	s_ashr_i64 s[2:3], s[2:3], 29
	s_waitcnt vmcnt(0)
	v_mul_f32_e32 v56, v55, v17
	v_mul_f32_e32 v17, v55, v13
	;; [unrolled: 1-line block ×3, first 2 shown]
	v_fma_f32 v19, v17, s4, -v18
	v_rndne_f32_e32 v20, v18
	v_fmac_f32_e32 v19, 0x32a5705f, v17
	v_sub_f32_e32 v18, v18, v20
	v_add_f32_e32 v18, v18, v19
	v_exp_f32_e32 v18, v18
	v_cvt_i32_f32_e32 v19, v20
	v_cmp_ngt_f32_e64 s[0:1], s5, v17
	v_ldexp_f32 v18, v18, v19
	v_cndmask_b32_e64 v18, 0, v18, s[0:1]
	v_cmp_nlt_f32_e64 s[0:1], s7, v17
	v_cndmask_b32_e64 v57, v58, v18, s[0:1]
	ds_read_b128 v[60:63], v59
	ds_read_b128 v[64:67], v59 offset:16
	ds_read_b128 v[21:24], v59 offset:32
	ds_read_b128 v[17:20], v59 offset:48
	ds_read_b128 v[68:71], v59 offset:64
	s_waitcnt lgkmcnt(4)
	v_mul_f32_e32 v46, v56, v60
	v_fmac_f32_e32 v46, v44, v57
	v_mul_f32_e32 v44, v55, v14
	v_mul_f32_e32 v60, 0x3fb8aa3b, v44
	s_waitcnt lgkmcnt(0)
	v_fma_f32 v57, v68, v46, 0
	v_fma_f32 v68, v44, s4, -v60
	v_rndne_f32_e32 v72, v60
	v_fmac_f32_e32 v68, 0x32a5705f, v44
	v_sub_f32_e32 v60, v60, v72
	v_add_f32_e32 v60, v60, v68
	v_exp_f32_e32 v60, v60
	v_cvt_i32_f32_e32 v68, v72
	v_cmp_ngt_f32_e64 s[0:1], s5, v44
	v_mul_f32_e32 v17, v56, v17
	v_mul_f32_e32 v18, v56, v18
	v_ldexp_f32 v60, v60, v68
	v_cndmask_b32_e64 v60, 0, v60, s[0:1]
	v_cmp_nlt_f32_e64 s[0:1], s7, v44
	v_cndmask_b32_e64 v60, v58, v60, s[0:1]
	v_mul_f32_e32 v44, v56, v61
	v_fmac_f32_e32 v44, v43, v60
	v_mul_f32_e32 v43, v55, v15
	v_mul_f32_e32 v60, 0x3fb8aa3b, v43
	v_fma_f32 v61, v43, s4, -v60
	v_rndne_f32_e32 v68, v60
	v_fmac_f32_e32 v61, 0x32a5705f, v43
	v_sub_f32_e32 v60, v60, v68
	v_add_f32_e32 v60, v60, v61
	v_exp_f32_e32 v60, v60
	v_cvt_i32_f32_e32 v61, v68
	v_cmp_ngt_f32_e64 s[0:1], s5, v43
	v_fmac_f32_e32 v57, v69, v44
	v_mul_f32_e32 v19, v56, v19
	v_ldexp_f32 v60, v60, v61
	v_cndmask_b32_e64 v60, 0, v60, s[0:1]
	v_cmp_nlt_f32_e64 s[0:1], s7, v43
	v_cndmask_b32_e64 v60, v58, v60, s[0:1]
	v_mul_f32_e32 v43, v56, v62
	v_fmac_f32_e32 v43, v42, v60
	v_mul_f32_e32 v42, v55, v16
	v_mul_f32_e32 v60, 0x3fb8aa3b, v42
	v_fma_f32 v61, v42, s4, -v60
	v_rndne_f32_e32 v62, v60
	v_fmac_f32_e32 v61, 0x32a5705f, v42
	v_sub_f32_e32 v60, v60, v62
	v_add_f32_e32 v60, v60, v61
	v_exp_f32_e32 v60, v60
	v_cvt_i32_f32_e32 v61, v62
	v_cmp_ngt_f32_e64 s[0:1], s5, v42
	v_fmac_f32_e32 v57, v70, v43
	;; [unrolled: 18-line block ×3, first 2 shown]
	v_ldexp_f32 v60, v60, v61
	v_cndmask_b32_e64 v60, 0, v60, s[0:1]
	v_cmp_nlt_f32_e64 s[0:1], s7, v31
	v_cndmask_b32_e64 v60, v58, v60, s[0:1]
	v_mul_f32_e32 v31, v56, v64
	v_fmac_f32_e32 v31, v45, v60
	ds_read_b128 v[60:63], v59 offset:80
	v_mul_f32_e32 v45, v55, v10
	v_cmp_ngt_f32_e64 s[0:1], s5, v45
	s_waitcnt lgkmcnt(0)
	v_fmac_f32_e32 v57, v60, v31
	v_mul_f32_e32 v60, 0x3fb8aa3b, v45
	v_fma_f32 v64, v45, s4, -v60
	v_rndne_f32_e32 v68, v60
	v_fmac_f32_e32 v64, 0x32a5705f, v45
	v_sub_f32_e32 v60, v60, v68
	v_add_f32_e32 v60, v60, v64
	v_exp_f32_e32 v60, v60
	v_cvt_i32_f32_e32 v64, v68
	v_ldexp_f32 v60, v60, v64
	v_cndmask_b32_e64 v60, 0, v60, s[0:1]
	v_cmp_nlt_f32_e64 s[0:1], s7, v45
	v_cndmask_b32_e64 v60, v58, v60, s[0:1]
	v_mul_f32_e32 v45, v56, v65
	v_fmac_f32_e32 v45, v28, v60
	v_mul_f32_e32 v28, v55, v11
	v_mul_f32_e32 v60, 0x3fb8aa3b, v28
	v_fmac_f32_e32 v57, v61, v45
	v_fma_f32 v61, v28, s4, -v60
	v_rndne_f32_e32 v64, v60
	v_fmac_f32_e32 v61, 0x32a5705f, v28
	v_sub_f32_e32 v60, v60, v64
	v_add_f32_e32 v60, v60, v61
	v_exp_f32_e32 v60, v60
	v_cvt_i32_f32_e32 v61, v64
	v_cmp_ngt_f32_e64 s[0:1], s5, v28
	v_ldexp_f32 v60, v60, v61
	v_cndmask_b32_e64 v60, 0, v60, s[0:1]
	v_cmp_nlt_f32_e64 s[0:1], s7, v28
	v_cndmask_b32_e64 v60, v58, v60, s[0:1]
	v_mul_f32_e32 v28, v56, v66
	v_fmac_f32_e32 v28, v27, v60
	v_mul_f32_e32 v27, v55, v12
	v_mul_f32_e32 v60, 0x3fb8aa3b, v27
	v_fmac_f32_e32 v57, v62, v28
	v_fma_f32 v61, v27, s4, -v60
	v_rndne_f32_e32 v62, v60
	v_fmac_f32_e32 v61, 0x32a5705f, v27
	v_sub_f32_e32 v60, v60, v62
	v_add_f32_e32 v60, v60, v61
	v_exp_f32_e32 v60, v60
	v_cvt_i32_f32_e32 v61, v62
	v_cmp_ngt_f32_e64 s[0:1], s5, v27
	v_ldexp_f32 v60, v60, v61
	v_cndmask_b32_e64 v60, 0, v60, s[0:1]
	v_cmp_nlt_f32_e64 s[0:1], s7, v27
	v_cndmask_b32_e64 v60, v58, v60, s[0:1]
	v_mul_f32_e32 v27, v56, v67
	v_fmac_f32_e32 v27, v47, v60
	v_mul_f32_e32 v47, v55, v5
	v_mul_f32_e32 v60, 0x3fb8aa3b, v47
	v_fma_f32 v61, v47, s4, -v60
	v_rndne_f32_e32 v62, v60
	v_fmac_f32_e32 v61, 0x32a5705f, v47
	v_sub_f32_e32 v60, v60, v62
	v_add_f32_e32 v60, v60, v61
	v_exp_f32_e32 v60, v60
	v_cvt_i32_f32_e32 v61, v62
	v_cmp_ngt_f32_e64 s[0:1], s5, v47
	v_fmac_f32_e32 v57, v63, v27
	v_ldexp_f32 v60, v60, v61
	v_cndmask_b32_e64 v60, 0, v60, s[0:1]
	v_cmp_nlt_f32_e64 s[0:1], s7, v47
	v_cndmask_b32_e64 v60, v58, v60, s[0:1]
	v_mul_f32_e32 v47, v56, v21
	v_fmac_f32_e32 v47, v51, v60
	ds_read_b128 v[60:63], v59 offset:96
	v_mul_f32_e32 v21, v55, v6
	v_mul_f32_e32 v51, 0x3fb8aa3b, v21
	v_rndne_f32_e32 v64, v51
	v_cmp_ngt_f32_e64 s[0:1], s5, v21
	s_waitcnt lgkmcnt(0)
	v_fmac_f32_e32 v57, v60, v47
	v_fma_f32 v60, v21, s4, -v51
	v_fmac_f32_e32 v60, 0x32a5705f, v21
	v_sub_f32_e32 v51, v51, v64
	v_add_f32_e32 v51, v51, v60
	v_exp_f32_e32 v51, v51
	v_cvt_i32_f32_e32 v60, v64
	v_ldexp_f32 v51, v51, v60
	v_cndmask_b32_e64 v51, 0, v51, s[0:1]
	v_cmp_nlt_f32_e64 s[0:1], s7, v21
	v_cndmask_b32_e64 v51, v58, v51, s[0:1]
	v_mul_f32_e32 v21, v56, v22
	v_mul_f32_e32 v22, v55, v7
	v_fmac_f32_e32 v21, v50, v51
	v_mul_f32_e32 v50, 0x3fb8aa3b, v22
	v_fma_f32 v51, v22, s4, -v50
	v_rndne_f32_e32 v60, v50
	v_fmac_f32_e32 v51, 0x32a5705f, v22
	v_sub_f32_e32 v50, v50, v60
	v_add_f32_e32 v50, v50, v51
	v_exp_f32_e32 v50, v50
	v_cvt_i32_f32_e32 v51, v60
	v_cmp_ngt_f32_e64 s[0:1], s5, v22
	v_fmac_f32_e32 v57, v61, v21
	v_ldexp_f32 v50, v50, v51
	v_cndmask_b32_e64 v50, 0, v50, s[0:1]
	v_cmp_nlt_f32_e64 s[0:1], s7, v22
	v_cndmask_b32_e64 v50, v58, v50, s[0:1]
	v_mul_f32_e32 v22, v56, v23
	v_mul_f32_e32 v23, v55, v8
	v_fmac_f32_e32 v22, v49, v50
	v_mul_f32_e32 v49, 0x3fb8aa3b, v23
	v_fma_f32 v50, v23, s4, -v49
	v_rndne_f32_e32 v51, v49
	v_fmac_f32_e32 v50, 0x32a5705f, v23
	v_sub_f32_e32 v49, v49, v51
	v_add_f32_e32 v49, v49, v50
	v_exp_f32_e32 v49, v49
	v_cvt_i32_f32_e32 v50, v51
	v_cmp_ngt_f32_e64 s[0:1], s5, v23
	v_fmac_f32_e32 v57, v62, v22
	;; [unrolled: 17-line block ×3, first 2 shown]
	v_ldexp_f32 v48, v48, v49
	v_cndmask_b32_e64 v48, 0, v48, s[0:1]
	v_cmp_nlt_f32_e64 s[0:1], s7, v24
	v_cndmask_b32_e64 v24, v58, v48, s[0:1]
	ds_read_b128 v[48:51], v59 offset:112
	v_fmac_f32_e32 v17, v54, v24
	v_mul_f32_e32 v24, v55, v2
	v_cmp_ngt_f32_e64 s[0:1], s5, v24
	s_waitcnt lgkmcnt(0)
	v_fmac_f32_e32 v57, v48, v17
	v_mul_f32_e32 v48, 0x3fb8aa3b, v24
	v_fma_f32 v54, v24, s4, -v48
	v_rndne_f32_e32 v59, v48
	v_fmac_f32_e32 v54, 0x32a5705f, v24
	v_sub_f32_e32 v48, v48, v59
	v_add_f32_e32 v48, v48, v54
	v_exp_f32_e32 v48, v48
	v_cvt_i32_f32_e32 v54, v59
	v_ldexp_f32 v48, v48, v54
	v_cndmask_b32_e64 v48, 0, v48, s[0:1]
	v_cmp_nlt_f32_e64 s[0:1], s7, v24
	v_cndmask_b32_e64 v24, v58, v48, s[0:1]
	v_fmac_f32_e32 v18, v32, v24
	v_mul_f32_e32 v24, v55, v3
	v_mul_f32_e32 v32, 0x3fb8aa3b, v24
	v_fmac_f32_e32 v57, v49, v18
	v_fma_f32 v48, v24, s4, -v32
	v_rndne_f32_e32 v49, v32
	v_fmac_f32_e32 v48, 0x32a5705f, v24
	v_sub_f32_e32 v32, v32, v49
	v_add_f32_e32 v32, v32, v48
	v_exp_f32_e32 v32, v32
	v_cvt_i32_f32_e32 v48, v49
	v_cmp_ngt_f32_e64 s[0:1], s5, v24
	v_ldexp_f32 v32, v32, v48
	v_cndmask_b32_e64 v32, 0, v32, s[0:1]
	v_cmp_nlt_f32_e64 s[0:1], s7, v24
	v_cndmask_b32_e64 v24, v58, v32, s[0:1]
	v_fmac_f32_e32 v19, v53, v24
	v_mul_f32_e32 v24, v55, v4
	v_mul_f32_e32 v32, 0x3fb8aa3b, v24
	v_fma_f32 v48, v24, s4, -v32
	v_rndne_f32_e32 v49, v32
	v_fmac_f32_e32 v48, 0x32a5705f, v24
	v_sub_f32_e32 v32, v32, v49
	v_add_f32_e32 v32, v32, v48
	v_exp_f32_e32 v32, v32
	v_cvt_i32_f32_e32 v48, v49
	v_cmp_ngt_f32_e64 s[0:1], s5, v24
	v_fmac_f32_e32 v57, v50, v19
	v_ldexp_f32 v32, v32, v48
	v_cndmask_b32_e64 v32, 0, v32, s[0:1]
	v_cmp_nlt_f32_e64 s[0:1], s7, v24
	v_cndmask_b32_e64 v24, v58, v32, s[0:1]
	v_fmac_f32_e32 v20, v52, v24
	v_add_co_u32_e64 v48, s[0:1], s2, v29
	v_mov_b32_e32 v24, s3
	v_fmac_f32_e32 v57, v51, v20
	v_addc_co_u32_e64 v49, s[0:1], v30, v24, s[0:1]
	global_store_dword v[48:49], v57, off
	s_waitcnt vmcnt(0)
	s_barrier
	s_and_saveexec_b64 s[0:1], vcc
	s_cbranch_execz .LBB5_14
; %bb.13:
	v_mad_i64_i32 v[35:36], s[2:3], s18, 12, v[35:36]
	v_mad_i64_i32 v[37:38], s[2:3], s20, 12, v[37:38]
	global_load_dword v24, v[35:36], off
	global_load_dword v32, v[37:38], off
	s_waitcnt vmcnt(1)
	ds_write_b32 v0, v24
	s_waitcnt vmcnt(0)
	ds_write_b32 v41, v32
.LBB5_14:
	s_or_b64 exec, exec, s[0:1]
	v_mov_b32_e32 v0, s29
	v_add_co_u32_e32 v24, vcc, s28, v25
	v_addc_co_u32_e32 v25, vcc, v26, v0, vcc
	s_waitcnt lgkmcnt(0)
	s_barrier
	global_load_dword v0, v[24:25], off
	s_bfe_i64 s[0:1], s[38:39], 0x200000
	s_mov_b32 s1, 0x41a00000
	s_waitcnt vmcnt(0)
	v_cmp_ge_f32_e32 vcc, s1, v0
	s_and_saveexec_b64 s[2:3], vcc
	s_cbranch_execz .LBB5_16
; %bb.15:
	v_mul_f32_e32 v24, 0x3fb8aa3b, v0
	s_mov_b32 s1, 0x3fb8aa3b
	v_rndne_f32_e32 v25, v24
	v_sub_f32_e32 v26, v24, v25
	v_fma_f32 v24, v0, s1, -v24
	v_fmac_f32_e32 v24, 0x32a5705f, v0
	v_add_f32_e32 v24, v26, v24
	v_exp_f32_e32 v24, v24
	v_cvt_i32_f32_e32 v25, v25
	s_mov_b32 s1, 0xc2ce8ed0
	v_cmp_ngt_f32_e32 vcc, s1, v0
	s_mov_b32 s1, 0x42b17218
	v_ldexp_f32 v24, v24, v25
	v_cndmask_b32_e32 v24, 0, v24, vcc
	v_mov_b32_e32 v26, 0x7f800000
	v_cmp_nlt_f32_e32 vcc, s1, v0
	v_cndmask_b32_e32 v0, v26, v24, vcc
	v_add_f32_e32 v32, 1.0, v0
	v_cvt_f64_f32_e32 v[24:25], v32
	v_add_f32_e32 v35, -1.0, v32
	v_sub_f32_e32 v36, v35, v32
	v_sub_f32_e32 v35, v0, v35
	v_frexp_exp_i32_f64_e32 v24, v[24:25]
	v_add_f32_e32 v25, 1.0, v36
	v_add_f32_e32 v25, v35, v25
	v_frexp_mant_f32_e32 v35, v32
	s_mov_b32 s4, 0x3f2aaaab
	v_cmp_gt_f32_e32 vcc, s4, v35
	s_mov_b32 s4, 0x3f317218
	s_mov_b32 s1, 0x7f800000
	v_subbrev_co_u32_e32 v24, vcc, 0, v24, vcc
	v_sub_u32_e32 v35, 0, v24
	v_ldexp_f32 v32, v32, v35
	v_ldexp_f32 v25, v25, v35
	v_add_f32_e32 v35, -1.0, v32
	v_add_f32_e32 v38, 1.0, v32
	v_add_f32_e32 v36, 1.0, v35
	v_add_f32_e32 v41, -1.0, v38
	v_sub_f32_e32 v36, v32, v36
	v_sub_f32_e32 v32, v32, v41
	v_add_f32_e32 v36, v25, v36
	v_add_f32_e32 v25, v25, v32
	;; [unrolled: 1-line block ×3, first 2 shown]
	v_rcp_f32_e32 v41, v32
	v_add_f32_e32 v37, v35, v36
	v_sub_f32_e32 v35, v35, v37
	v_add_f32_e32 v35, v36, v35
	v_sub_f32_e32 v36, v38, v32
	v_add_f32_e32 v25, v25, v36
	v_mul_f32_e32 v36, v37, v41
	v_mul_f32_e32 v38, v32, v36
	v_fma_f32 v48, v36, v32, -v38
	v_fmac_f32_e32 v48, v36, v25
	v_add_f32_e32 v49, v38, v48
	v_sub_f32_e32 v50, v37, v49
	v_sub_f32_e32 v37, v37, v50
	v_sub_f32_e32 v38, v49, v38
	v_sub_f32_e32 v37, v37, v49
	v_add_f32_e32 v35, v35, v37
	v_sub_f32_e32 v37, v38, v48
	v_add_f32_e32 v35, v37, v35
	v_add_f32_e32 v37, v50, v35
	v_mul_f32_e32 v38, v41, v37
	v_mul_f32_e32 v48, v32, v38
	v_fma_f32 v32, v38, v32, -v48
	v_fmac_f32_e32 v32, v38, v25
	v_sub_f32_e32 v25, v50, v37
	v_add_f32_e32 v25, v35, v25
	v_add_f32_e32 v35, v48, v32
	v_sub_f32_e32 v49, v37, v35
	v_sub_f32_e32 v37, v37, v49
	;; [unrolled: 1-line block ×4, first 2 shown]
	v_add_f32_e32 v25, v25, v35
	v_sub_f32_e32 v32, v48, v32
	v_add_f32_e32 v25, v32, v25
	v_add_f32_e32 v32, v36, v38
	;; [unrolled: 1-line block ×3, first 2 shown]
	v_sub_f32_e32 v35, v32, v36
	v_mul_f32_e32 v25, v41, v25
	v_sub_f32_e32 v35, v38, v35
	v_add_f32_e32 v25, v35, v25
	v_cvt_f32_i32_e32 v24, v24
	v_add_f32_e32 v35, v32, v25
	v_mul_f32_e32 v36, v35, v35
	v_mov_b32_e32 v37, 0x3ecc95a3
	v_fmac_f32_e32 v37, 0x3e9b6dac, v36
	v_mov_b32_e32 v38, 0x3f2aaada
	v_fmac_f32_e32 v38, v36, v37
	v_mul_f32_e32 v37, 0x3f317218, v24
	v_fma_f32 v41, v24, s4, -v37
	v_fmac_f32_e32 v41, 0xb102e308, v24
	v_sub_f32_e32 v24, v35, v32
	v_sub_f32_e32 v24, v25, v24
	v_add_f32_e32 v25, v37, v41
	v_sub_f32_e32 v32, v25, v37
	v_ldexp_f32 v37, v35, 1
	v_mul_f32_e32 v35, v35, v36
	v_mul_f32_e32 v35, v35, v38
	v_add_f32_e32 v36, v37, v35
	v_sub_f32_e32 v37, v36, v37
	v_ldexp_f32 v24, v24, 1
	v_sub_f32_e32 v35, v35, v37
	v_add_f32_e32 v24, v24, v35
	v_add_f32_e32 v35, v36, v24
	v_sub_f32_e32 v36, v35, v36
	v_sub_f32_e32 v24, v24, v36
	v_add_f32_e32 v36, v25, v35
	v_sub_f32_e32 v37, v36, v25
	v_sub_f32_e32 v38, v36, v37
	;; [unrolled: 1-line block ×5, first 2 shown]
	v_add_f32_e32 v25, v35, v25
	v_add_f32_e32 v35, v32, v24
	v_sub_f32_e32 v37, v35, v32
	v_sub_f32_e32 v38, v35, v37
	;; [unrolled: 1-line block ×4, first 2 shown]
	v_add_f32_e32 v25, v35, v25
	v_add_f32_e32 v24, v24, v32
	;; [unrolled: 1-line block ×3, first 2 shown]
	v_sub_f32_e32 v35, v32, v36
	v_sub_f32_e32 v25, v25, v35
	v_add_f32_e32 v24, v24, v25
	v_add_f32_e32 v24, v32, v24
	v_cmp_neq_f32_e32 vcc, s1, v0
	s_mov_b32 s1, 0x33800000
	v_cndmask_b32_e32 v24, v26, v24, vcc
	v_cmp_gt_f32_e32 vcc, s1, v0
	v_cndmask_b32_e32 v0, v24, v0, vcc
.LBB5_16:
	s_or_b64 exec, exec, s[2:3]
	v_mad_i64_i32 v[24:25], s[2:3], s26, 12, v[39:40]
	s_mov_b32 s2, 0x3fb8aa3b
	v_mul_f32_e32 v26, v0, v14
	global_load_dword v24, v[24:25], off
	v_mul_f32_e32 v25, v0, v13
	v_mul_f32_e32 v64, 0x3fb8aa3b, v25
	;; [unrolled: 1-line block ×4, first 2 shown]
	v_fma_f32 v69, v25, s2, -v64
	v_rndne_f32_e32 v70, v64
	v_mul_f32_e32 v41, v0, v16
	v_mul_f32_e32 v66, 0x3fb8aa3b, v40
	v_fma_f32 v71, v26, s2, -v65
	v_rndne_f32_e32 v72, v65
	v_fmac_f32_e32 v69, 0x32a5705f, v25
	v_sub_f32_e32 v64, v64, v70
	v_mul_f32_e32 v67, 0x3fb8aa3b, v41
	v_fma_f32 v73, v40, s2, -v66
	v_rndne_f32_e32 v74, v66
	v_fmac_f32_e32 v71, 0x32a5705f, v26
	v_sub_f32_e32 v65, v65, v72
	v_add_f32_e32 v64, v64, v69
	v_fma_f32 v75, v41, s2, -v67
	v_rndne_f32_e32 v76, v67
	v_cvt_i32_f32_e32 v70, v70
	v_fmac_f32_e32 v73, 0x32a5705f, v40
	v_sub_f32_e32 v66, v66, v74
	v_add_f32_e32 v65, v65, v71
	v_exp_f32_e32 v64, v64
	v_cvt_i32_f32_e32 v72, v72
	v_fmac_f32_e32 v75, 0x32a5705f, v41
	v_sub_f32_e32 v67, v67, v76
	v_add_f32_e32 v66, v66, v73
	v_exp_f32_e32 v65, v65
	v_cvt_i32_f32_e32 v74, v74
	v_add_f32_e32 v67, v67, v75
	v_exp_f32_e32 v66, v66
	s_mov_b32 s1, 0xc2ce8ed0
	v_cvt_i32_f32_e32 v76, v76
	v_exp_f32_e32 v67, v67
	v_ldexp_f32 v64, v64, v70
	v_cmp_ngt_f32_e32 vcc, s1, v25
	v_ldexp_f32 v65, v65, v72
	v_cndmask_b32_e32 v64, 0, v64, vcc
	v_cmp_ngt_f32_e32 vcc, s1, v26
	v_mul_f32_e32 v9, v0, v9
	v_ldexp_f32 v66, v66, v74
	v_cndmask_b32_e32 v65, 0, v65, vcc
	v_cmp_ngt_f32_e32 vcc, s1, v40
	s_mov_b32 s3, 0x42b17218
	v_mov_b32_e32 v39, 0
	v_mul_f32_e32 v68, 0x3fb8aa3b, v9
	v_ldexp_f32 v67, v67, v76
	v_cndmask_b32_e32 v66, 0, v66, vcc
	v_cmp_ngt_f32_e32 vcc, s1, v41
	v_mov_b32_e32 v32, 0x7f800000
	ds_read_b128 v[13:16], v39
	ds_read_b128 v[35:38], v39 offset:16
	ds_read_b128 v[48:51], v39 offset:32
	;; [unrolled: 1-line block ×3, first 2 shown]
	v_fma_f32 v77, v9, s2, -v68
	v_rndne_f32_e32 v78, v68
	v_cndmask_b32_e32 v67, 0, v67, vcc
	v_cmp_nlt_f32_e32 vcc, s3, v25
	v_fmac_f32_e32 v77, 0x32a5705f, v9
	v_cndmask_b32_e32 v25, v32, v64, vcc
	v_cmp_nlt_f32_e32 vcc, s3, v26
	v_cndmask_b32_e32 v26, v32, v65, vcc
	v_cmp_nlt_f32_e32 vcc, s3, v40
	;; [unrolled: 2-line block ×3, first 2 shown]
	v_cndmask_b32_e32 v41, v32, v67, vcc
	v_cmp_ngt_f32_e32 vcc, s1, v9
	v_mul_f32_e32 v10, v0, v10
	v_mul_f32_e32 v11, v0, v11
	;; [unrolled: 1-line block ×4, first 2 shown]
	ds_read_b128 v[56:59], v39 offset:64
	ds_read_b128 v[60:63], v39 offset:80
	v_mul_f32_e32 v6, v0, v6
	v_mul_f32_e32 v7, v0, v7
	;; [unrolled: 1-line block ×6, first 2 shown]
	s_add_u32 s4, s22, s36
	s_mul_i32 s5, s25, s6
	s_waitcnt vmcnt(0)
	v_mul_f32_e32 v64, v0, v24
	v_sub_f32_e32 v24, v68, v78
	s_waitcnt lgkmcnt(5)
	v_mul_f32_e32 v13, v64, v13
	v_add_f32_e32 v24, v24, v77
	v_fmac_f32_e32 v13, v46, v25
	v_exp_f32_e32 v24, v24
	v_cvt_i32_f32_e32 v25, v78
	v_mul_f32_e32 v14, v64, v14
	v_fmac_f32_e32 v14, v44, v26
	v_mul_f32_e32 v15, v64, v15
	v_ldexp_f32 v24, v24, v25
	v_cndmask_b32_e32 v24, 0, v24, vcc
	v_cmp_nlt_f32_e32 vcc, s3, v9
	v_mul_f32_e32 v9, 0x3fb8aa3b, v10
	v_fma_f32 v25, v10, s2, -v9
	v_rndne_f32_e32 v26, v9
	v_fmac_f32_e32 v25, 0x32a5705f, v10
	v_sub_f32_e32 v9, v9, v26
	v_add_f32_e32 v9, v9, v25
	v_exp_f32_e32 v25, v9
	v_cvt_i32_f32_e32 v26, v26
	v_cndmask_b32_e32 v24, v32, v24, vcc
	s_waitcnt lgkmcnt(4)
	v_mul_f32_e32 v9, v64, v35
	v_fmac_f32_e32 v9, v31, v24
	v_ldexp_f32 v24, v25, v26
	v_cmp_ngt_f32_e32 vcc, s1, v10
	v_cndmask_b32_e32 v24, 0, v24, vcc
	v_cmp_nlt_f32_e32 vcc, s3, v10
	v_mul_f32_e32 v10, 0x3fb8aa3b, v11
	v_fma_f32 v25, v11, s2, -v10
	v_rndne_f32_e32 v26, v10
	v_fmac_f32_e32 v25, 0x32a5705f, v11
	v_sub_f32_e32 v10, v10, v26
	v_add_f32_e32 v10, v10, v25
	v_exp_f32_e32 v25, v10
	v_cvt_i32_f32_e32 v26, v26
	v_cndmask_b32_e32 v24, v32, v24, vcc
	v_mul_f32_e32 v10, v64, v36
	v_fmac_f32_e32 v10, v45, v24
	v_ldexp_f32 v24, v25, v26
	v_cmp_ngt_f32_e32 vcc, s1, v11
	v_cndmask_b32_e32 v24, 0, v24, vcc
	v_cmp_nlt_f32_e32 vcc, s3, v11
	v_mul_f32_e32 v11, 0x3fb8aa3b, v12
	v_fma_f32 v25, v12, s2, -v11
	v_rndne_f32_e32 v26, v11
	v_fmac_f32_e32 v25, 0x32a5705f, v12
	v_sub_f32_e32 v11, v11, v26
	v_add_f32_e32 v11, v11, v25
	v_exp_f32_e32 v25, v11
	v_cvt_i32_f32_e32 v26, v26
	v_cndmask_b32_e32 v24, v32, v24, vcc
	v_mul_f32_e32 v11, v64, v37
	v_fmac_f32_e32 v11, v28, v24
	v_ldexp_f32 v24, v25, v26
	v_cmp_ngt_f32_e32 vcc, s1, v12
	v_cndmask_b32_e32 v24, 0, v24, vcc
	v_cmp_nlt_f32_e32 vcc, s3, v12
	v_mul_f32_e32 v12, 0x3fb8aa3b, v5
	v_fma_f32 v25, v5, s2, -v12
	v_rndne_f32_e32 v26, v12
	v_fmac_f32_e32 v25, 0x32a5705f, v5
	v_sub_f32_e32 v12, v12, v26
	v_add_f32_e32 v12, v12, v25
	v_exp_f32_e32 v25, v12
	v_cvt_i32_f32_e32 v26, v26
	v_fmac_f32_e32 v15, v43, v40
	s_waitcnt lgkmcnt(1)
	v_fma_f32 v40, v56, v13, 0
	v_cndmask_b32_e32 v24, v32, v24, vcc
	v_mul_f32_e32 v12, v64, v38
	v_mul_f32_e32 v31, 0x3fb8aa3b, v6
	v_fmac_f32_e32 v40, v57, v14
	v_mul_f32_e32 v16, v64, v16
	v_fmac_f32_e32 v12, v27, v24
	v_ldexp_f32 v24, v25, v26
	v_cmp_ngt_f32_e32 vcc, s1, v5
	v_fma_f32 v35, v6, s2, -v31
	v_rndne_f32_e32 v36, v31
	v_fmac_f32_e32 v40, v58, v15
	v_fmac_f32_e32 v16, v42, v41
	v_cndmask_b32_e32 v24, 0, v24, vcc
	v_cmp_nlt_f32_e32 vcc, s3, v5
	v_fmac_f32_e32 v35, 0x32a5705f, v6
	v_sub_f32_e32 v31, v31, v36
	v_fmac_f32_e32 v40, v59, v16
	v_cndmask_b32_e32 v28, v32, v24, vcc
	ds_read_b128 v[24:27], v39 offset:96
	v_add_f32_e32 v31, v31, v35
	s_waitcnt lgkmcnt(1)
	v_fmac_f32_e32 v40, v60, v9
	v_exp_f32_e32 v31, v31
	v_cvt_i32_f32_e32 v41, v36
	v_fmac_f32_e32 v40, v61, v10
	v_fmac_f32_e32 v40, v62, v11
	v_mul_f32_e32 v5, v64, v48
	v_fmac_f32_e32 v40, v63, v12
	v_fmac_f32_e32 v5, v47, v28
	ds_read_b128 v[35:38], v39 offset:112
	s_waitcnt lgkmcnt(1)
	v_fmac_f32_e32 v40, v24, v5
	v_ldexp_f32 v24, v31, v41
	v_cmp_ngt_f32_e32 vcc, s1, v6
	v_cndmask_b32_e32 v24, 0, v24, vcc
	v_cmp_nlt_f32_e32 vcc, s3, v6
	v_mul_f32_e32 v6, 0x3fb8aa3b, v7
	v_fma_f32 v28, v7, s2, -v6
	v_rndne_f32_e32 v31, v6
	v_fmac_f32_e32 v28, 0x32a5705f, v7
	v_sub_f32_e32 v6, v6, v31
	v_add_f32_e32 v6, v6, v28
	v_exp_f32_e32 v28, v6
	v_cvt_i32_f32_e32 v31, v31
	v_cndmask_b32_e32 v24, v32, v24, vcc
	v_mul_f32_e32 v6, v64, v49
	v_fmac_f32_e32 v6, v21, v24
	v_ldexp_f32 v21, v28, v31
	v_cmp_ngt_f32_e32 vcc, s1, v7
	v_cndmask_b32_e32 v21, 0, v21, vcc
	v_cmp_nlt_f32_e32 vcc, s3, v7
	v_mul_f32_e32 v7, 0x3fb8aa3b, v8
	v_fmac_f32_e32 v40, v25, v6
	v_fma_f32 v24, v8, s2, -v7
	v_rndne_f32_e32 v25, v7
	v_fmac_f32_e32 v24, 0x32a5705f, v8
	v_sub_f32_e32 v7, v7, v25
	v_add_f32_e32 v7, v7, v24
	v_exp_f32_e32 v24, v7
	v_cvt_i32_f32_e32 v25, v25
	v_cndmask_b32_e32 v21, v32, v21, vcc
	v_mul_f32_e32 v7, v64, v50
	v_fmac_f32_e32 v7, v22, v21
	v_ldexp_f32 v21, v24, v25
	v_cmp_ngt_f32_e32 vcc, s1, v8
	v_cndmask_b32_e32 v21, 0, v21, vcc
	v_cmp_nlt_f32_e32 vcc, s3, v8
	v_mul_f32_e32 v8, 0x3fb8aa3b, v1
	v_fma_f32 v22, v1, s2, -v8
	v_rndne_f32_e32 v24, v8
	v_fmac_f32_e32 v22, 0x32a5705f, v1
	v_sub_f32_e32 v8, v8, v24
	v_add_f32_e32 v8, v8, v22
	v_exp_f32_e32 v22, v8
	v_cvt_i32_f32_e32 v24, v24
	v_cndmask_b32_e32 v21, v32, v21, vcc
	v_mul_f32_e32 v8, v64, v51
	v_fmac_f32_e32 v8, v23, v21
	v_ldexp_f32 v21, v22, v24
	v_cmp_ngt_f32_e32 vcc, s1, v1
	v_cndmask_b32_e32 v21, 0, v21, vcc
	v_cmp_nlt_f32_e32 vcc, s3, v1
	v_mul_f32_e32 v1, 0x3fb8aa3b, v2
	;; [unrolled: 15-line block ×3, first 2 shown]
	v_fma_f32 v21, v3, s2, -v2
	v_rndne_f32_e32 v22, v2
	v_fmac_f32_e32 v21, 0x32a5705f, v3
	v_sub_f32_e32 v2, v2, v22
	v_add_f32_e32 v2, v2, v21
	v_exp_f32_e32 v21, v2
	v_cvt_i32_f32_e32 v22, v22
	v_cndmask_b32_e32 v17, v32, v17, vcc
	v_mul_f32_e32 v2, v64, v53
	v_fmac_f32_e32 v2, v18, v17
	v_ldexp_f32 v17, v21, v22
	v_cmp_ngt_f32_e32 vcc, s1, v3
	v_mul_f32_e32 v0, v0, v4
	v_cndmask_b32_e32 v17, 0, v17, vcc
	v_cmp_nlt_f32_e32 vcc, s3, v3
	v_mul_f32_e32 v3, 0x3fb8aa3b, v0
	v_fma_f32 v4, v0, s2, -v3
	v_rndne_f32_e32 v18, v3
	v_fmac_f32_e32 v4, 0x32a5705f, v0
	v_sub_f32_e32 v3, v3, v18
	v_add_f32_e32 v3, v3, v4
	v_exp_f32_e32 v4, v3
	v_cvt_i32_f32_e32 v18, v18
	v_fmac_f32_e32 v40, v26, v7
	s_addc_u32 s6, s23, s37
	v_fmac_f32_e32 v40, v27, v8
	v_cndmask_b32_e32 v17, v32, v17, vcc
	v_mul_f32_e32 v3, v64, v54
	v_ldexp_f32 v4, v4, v18
	v_cmp_ngt_f32_e32 vcc, s1, v0
	s_add_u32 s4, s4, s5
	s_waitcnt lgkmcnt(0)
	v_fmac_f32_e32 v40, v35, v1
	v_fmac_f32_e32 v3, v19, v17
	v_cndmask_b32_e32 v4, 0, v4, vcc
	v_cmp_nlt_f32_e32 vcc, s3, v0
	v_mad_i64_i32 v[17:18], s[0:1], s0, 12, v[29:30]
	s_addc_u32 s5, s6, 0
	v_fmac_f32_e32 v40, v36, v2
	v_cndmask_b32_e32 v0, v32, v4, vcc
	v_mul_f32_e32 v4, v64, v55
	v_fmac_f32_e32 v40, v37, v3
	v_fmac_f32_e32 v4, v20, v0
	s_add_u32 s0, s4, s34
	v_fmac_f32_e32 v40, v38, v4
	s_addc_u32 s1, s5, s33
	global_store_dword v[17:18], v40, off
	v_mov_b32_e32 v0, s1
	v_add_co_u32_e32 v17, vcc, s0, v33
	v_addc_co_u32_e32 v18, vcc, v0, v34, vcc
	s_waitcnt vmcnt(0)
	s_barrier
	global_store_dwordx4 v[17:18], v[13:16], off
	global_store_dwordx4 v[17:18], v[9:12], off offset:16
	global_store_dwordx4 v[17:18], v[5:8], off offset:32
	;; [unrolled: 1-line block ×3, first 2 shown]
	s_endpgm
	.section	.rodata,"a",@progbits
	.p2align	6, 0x0
	.amdhsa_kernel _Z12ssm_scan_f32ILm128ELm16ELm4EEvPKfS1_S1_S1_S1_S1_PKiPfiiiiiiiiiiilll
		.amdhsa_group_segment_fixed_size 128
		.amdhsa_private_segment_fixed_size 0
		.amdhsa_kernarg_size 136
		.amdhsa_user_sgpr_count 6
		.amdhsa_user_sgpr_private_segment_buffer 1
		.amdhsa_user_sgpr_dispatch_ptr 0
		.amdhsa_user_sgpr_queue_ptr 0
		.amdhsa_user_sgpr_kernarg_segment_ptr 1
		.amdhsa_user_sgpr_dispatch_id 0
		.amdhsa_user_sgpr_flat_scratch_init 0
		.amdhsa_user_sgpr_private_segment_size 0
		.amdhsa_uses_dynamic_stack 0
		.amdhsa_system_sgpr_private_segment_wavefront_offset 0
		.amdhsa_system_sgpr_workgroup_id_x 1
		.amdhsa_system_sgpr_workgroup_id_y 1
		.amdhsa_system_sgpr_workgroup_id_z 0
		.amdhsa_system_sgpr_workgroup_info 0
		.amdhsa_system_vgpr_workitem_id 0
		.amdhsa_next_free_vgpr 79
		.amdhsa_next_free_sgpr 44
		.amdhsa_reserve_vcc 1
		.amdhsa_reserve_flat_scratch 0
		.amdhsa_float_round_mode_32 0
		.amdhsa_float_round_mode_16_64 0
		.amdhsa_float_denorm_mode_32 3
		.amdhsa_float_denorm_mode_16_64 3
		.amdhsa_dx10_clamp 1
		.amdhsa_ieee_mode 1
		.amdhsa_fp16_overflow 0
		.amdhsa_exception_fp_ieee_invalid_op 0
		.amdhsa_exception_fp_denorm_src 0
		.amdhsa_exception_fp_ieee_div_zero 0
		.amdhsa_exception_fp_ieee_overflow 0
		.amdhsa_exception_fp_ieee_underflow 0
		.amdhsa_exception_fp_ieee_inexact 0
		.amdhsa_exception_int_div_zero 0
	.end_amdhsa_kernel
	.section	.text._Z12ssm_scan_f32ILm128ELm16ELm4EEvPKfS1_S1_S1_S1_S1_PKiPfiiiiiiiiiiilll,"axG",@progbits,_Z12ssm_scan_f32ILm128ELm16ELm4EEvPKfS1_S1_S1_S1_S1_PKiPfiiiiiiiiiiilll,comdat
.Lfunc_end5:
	.size	_Z12ssm_scan_f32ILm128ELm16ELm4EEvPKfS1_S1_S1_S1_S1_PKiPfiiiiiiiiiiilll, .Lfunc_end5-_Z12ssm_scan_f32ILm128ELm16ELm4EEvPKfS1_S1_S1_S1_S1_PKiPfiiiiiiiiiiilll
                                        ; -- End function
	.set _Z12ssm_scan_f32ILm128ELm16ELm4EEvPKfS1_S1_S1_S1_S1_PKiPfiiiiiiiiiiilll.num_vgpr, 79
	.set _Z12ssm_scan_f32ILm128ELm16ELm4EEvPKfS1_S1_S1_S1_S1_PKiPfiiiiiiiiiiilll.num_agpr, 0
	.set _Z12ssm_scan_f32ILm128ELm16ELm4EEvPKfS1_S1_S1_S1_S1_PKiPfiiiiiiiiiiilll.numbered_sgpr, 44
	.set _Z12ssm_scan_f32ILm128ELm16ELm4EEvPKfS1_S1_S1_S1_S1_PKiPfiiiiiiiiiiilll.num_named_barrier, 0
	.set _Z12ssm_scan_f32ILm128ELm16ELm4EEvPKfS1_S1_S1_S1_S1_PKiPfiiiiiiiiiiilll.private_seg_size, 0
	.set _Z12ssm_scan_f32ILm128ELm16ELm4EEvPKfS1_S1_S1_S1_S1_PKiPfiiiiiiiiiiilll.uses_vcc, 1
	.set _Z12ssm_scan_f32ILm128ELm16ELm4EEvPKfS1_S1_S1_S1_S1_PKiPfiiiiiiiiiiilll.uses_flat_scratch, 0
	.set _Z12ssm_scan_f32ILm128ELm16ELm4EEvPKfS1_S1_S1_S1_S1_PKiPfiiiiiiiiiiilll.has_dyn_sized_stack, 0
	.set _Z12ssm_scan_f32ILm128ELm16ELm4EEvPKfS1_S1_S1_S1_S1_PKiPfiiiiiiiiiiilll.has_recursion, 0
	.set _Z12ssm_scan_f32ILm128ELm16ELm4EEvPKfS1_S1_S1_S1_S1_PKiPfiiiiiiiiiiilll.has_indirect_call, 0
	.section	.AMDGPU.csdata,"",@progbits
; Kernel info:
; codeLenInByte = 10708
; TotalNumSgprs: 48
; NumVgprs: 79
; ScratchSize: 0
; MemoryBound: 0
; FloatMode: 240
; IeeeMode: 1
; LDSByteSize: 128 bytes/workgroup (compile time only)
; SGPRBlocks: 5
; VGPRBlocks: 19
; NumSGPRsForWavesPerEU: 48
; NumVGPRsForWavesPerEU: 79
; Occupancy: 3
; WaveLimiterHint : 1
; COMPUTE_PGM_RSRC2:SCRATCH_EN: 0
; COMPUTE_PGM_RSRC2:USER_SGPR: 6
; COMPUTE_PGM_RSRC2:TRAP_HANDLER: 0
; COMPUTE_PGM_RSRC2:TGID_X_EN: 1
; COMPUTE_PGM_RSRC2:TGID_Y_EN: 1
; COMPUTE_PGM_RSRC2:TGID_Z_EN: 0
; COMPUTE_PGM_RSRC2:TIDIG_COMP_CNT: 0
	.section	.text._Z12ssm_scan_f32ILm128ELm16ELm5EEvPKfS1_S1_S1_S1_S1_PKiPfiiiiiiiiiiilll,"axG",@progbits,_Z12ssm_scan_f32ILm128ELm16ELm5EEvPKfS1_S1_S1_S1_S1_PKiPfiiiiiiiiiiilll,comdat
	.protected	_Z12ssm_scan_f32ILm128ELm16ELm5EEvPKfS1_S1_S1_S1_S1_PKiPfiiiiiiiiiiilll ; -- Begin function _Z12ssm_scan_f32ILm128ELm16ELm5EEvPKfS1_S1_S1_S1_S1_PKiPfiiiiiiiiiiilll
	.globl	_Z12ssm_scan_f32ILm128ELm16ELm5EEvPKfS1_S1_S1_S1_S1_PKiPfiiiiiiiiiiilll
	.p2align	8
	.type	_Z12ssm_scan_f32ILm128ELm16ELm5EEvPKfS1_S1_S1_S1_S1_PKiPfiiiiiiiiiiilll,@function
_Z12ssm_scan_f32ILm128ELm16ELm5EEvPKfS1_S1_S1_S1_S1_PKiPfiiiiiiiiiiilll: ; @_Z12ssm_scan_f32ILm128ELm16ELm5EEvPKfS1_S1_S1_S1_S1_PKiPfiiiiiiiiiiilll
; %bb.0:
	s_load_dwordx16 s[8:23], s[4:5], 0x0
	s_load_dwordx8 s[24:31], s[4:5], 0x40
	s_mov_b32 s2, s7
	s_mov_b32 s7, 0
	s_lshl_b64 s[0:1], s[6:7], 2
	s_waitcnt lgkmcnt(0)
	s_add_u32 s0, s20, s0
	s_addc_u32 s1, s21, s1
	s_load_dword s0, s[0:1], 0x0
	v_mov_b32_e32 v2, 0
	s_load_dwordx4 s[40:43], s[4:5], 0x60
	s_waitcnt lgkmcnt(0)
	s_mul_i32 s0, s0, s25
	s_ashr_i32 s1, s0, 31
	s_add_u32 s0, s8, s0
	s_addc_u32 s1, s9, s1
	s_lshl_b32 s3, s2, 7
	s_ashr_i32 s8, s24, 31
	s_mul_i32 s8, s3, s8
	s_mul_hi_u32 s9, s3, s24
	s_add_i32 s8, s9, s8
	s_lshr_b32 s9, s2, 25
	s_mul_i32 s20, s9, s24
	s_add_i32 s33, s8, s20
	s_mul_i32 s34, s3, s24
	s_add_u32 s0, s0, s34
	s_addc_u32 s1, s1, s33
	s_ashr_i32 s8, s30, 31
	s_mul_i32 s8, s3, s8
	s_mul_hi_u32 s20, s3, s30
	s_add_i32 s8, s20, s8
	s_mul_i32 s9, s9, s30
	s_add_i32 s8, s8, s9
	s_mul_i32 s3, s3, s30
	s_add_u32 s3, s14, s3
	s_addc_u32 s8, s15, s8
	s_ashr_i32 s9, s30, 2
	v_mul_lo_u32 v1, s9, v0
	s_ashr_i32 s9, s24, 2
	v_mov_b32_e32 v5, s8
	v_lshlrev_b64 v[3:4], 2, v[1:2]
	v_mul_lo_u32 v1, s9, v0
	v_add_co_u32_e32 v35, vcc, s3, v3
	v_addc_co_u32_e32 v36, vcc, v5, v4, vcc
	v_lshlrev_b64 v[33:34], 2, v[1:2]
	v_mov_b32_e32 v1, s1
	v_add_co_u32_e32 v37, vcc, s0, v33
	v_addc_co_u32_e32 v38, vcc, v1, v34, vcc
	global_load_dwordx4 v[1:4], v[35:36], off offset:48
	global_load_dwordx4 v[5:8], v[35:36], off offset:32
	;; [unrolled: 1-line block ×3, first 2 shown]
	global_load_dwordx4 v[13:16], v[35:36], off
	global_load_dwordx4 v[17:20], v[37:38], off offset:48
	global_load_dwordx4 v[21:24], v[37:38], off offset:32
	;; [unrolled: 1-line block ×3, first 2 shown]
	global_load_dwordx4 v[29:32], v[37:38], off
	s_mul_i32 s0, s40, s6
	s_add_u32 s0, s16, s0
	s_mov_b32 s3, s7
	s_mul_i32 s1, s42, s6
	s_addc_u32 s7, s17, 0
	v_cmp_gt_u32_e32 vcc, 16, v0
	v_lshlrev_b32_e32 v0, 2, v0
	s_add_u32 s8, s18, s1
	v_mov_b32_e32 v35, s7
	v_add_co_u32_e64 v39, s[0:1], s0, v0
	s_addc_u32 s9, s19, 0
	v_addc_co_u32_e64 v40, s[0:1], 0, v35, s[0:1]
	v_mov_b32_e32 v35, s9
	v_add_co_u32_e64 v37, s[0:1], s8, v0
	v_addc_co_u32_e64 v38, s[0:1], 0, v35, s[0:1]
	v_add_u32_e32 v41, 64, v0
	s_and_saveexec_b64 s[0:1], vcc
	s_cbranch_execz .LBB6_2
; %bb.1:
	global_load_dword v35, v[39:40], off
	global_load_dword v36, v[37:38], off
	s_waitcnt vmcnt(1)
	ds_write_b32 v0, v35
	s_waitcnt vmcnt(0)
	ds_write_b32 v41, v36
.LBB6_2:
	s_or_b64 exec, exec, s[0:1]
	s_lshl_b64 s[20:21], s[2:3], 9
	s_mul_i32 s0, s29, s6
	s_add_u32 s0, s12, s0
	s_addc_u32 s1, s13, 0
	s_add_u32 s0, s0, s20
	s_addc_u32 s1, s1, s21
	s_waitcnt vmcnt(0) lgkmcnt(0)
	s_barrier
	global_load_dword v54, v0, s[0:1]
	v_mov_b32_e32 v35, s1
	v_add_co_u32_e64 v45, s[0:1], s0, v0
	v_addc_co_u32_e64 v48, s[0:1], 0, v35, s[0:1]
	s_mov_b32 s0, 0x41a00000
	s_waitcnt vmcnt(0)
	v_cmp_ge_f32_e64 s[0:1], s0, v54
	s_and_saveexec_b64 s[2:3], s[0:1]
	s_cbranch_execz .LBB6_4
; %bb.3:
	v_mul_f32_e32 v35, 0x3fb8aa3b, v54
	s_mov_b32 s0, 0x3fb8aa3b
	v_rndne_f32_e32 v36, v35
	v_sub_f32_e32 v42, v35, v36
	v_fma_f32 v35, v54, s0, -v35
	v_fmac_f32_e32 v35, 0x32a5705f, v54
	v_add_f32_e32 v35, v42, v35
	v_exp_f32_e32 v35, v35
	v_cvt_i32_f32_e32 v36, v36
	s_mov_b32 s0, 0xc2ce8ed0
	v_cmp_ngt_f32_e64 s[0:1], s0, v54
	v_mov_b32_e32 v42, 0x7f800000
	v_ldexp_f32 v35, v35, v36
	v_cndmask_b32_e64 v35, 0, v35, s[0:1]
	s_mov_b32 s0, 0x42b17218
	v_cmp_nlt_f32_e64 s[0:1], s0, v54
	v_cndmask_b32_e64 v43, v42, v35, s[0:1]
	v_add_f32_e32 v44, 1.0, v43
	v_cvt_f64_f32_e32 v[35:36], v44
	v_add_f32_e32 v46, -1.0, v44
	v_sub_f32_e32 v47, v46, v44
	v_sub_f32_e32 v46, v43, v46
	v_frexp_exp_i32_f64_e32 v35, v[35:36]
	v_add_f32_e32 v36, 1.0, v47
	v_add_f32_e32 v36, v46, v36
	v_frexp_mant_f32_e32 v46, v44
	s_mov_b32 s0, 0x3f2aaaab
	v_cmp_gt_f32_e64 s[0:1], s0, v46
	s_mov_b32 s7, 0x7f800000
	v_subbrev_co_u32_e64 v35, s[0:1], 0, v35, s[0:1]
	v_sub_u32_e32 v46, 0, v35
	v_ldexp_f32 v44, v44, v46
	v_ldexp_f32 v36, v36, v46
	v_add_f32_e32 v46, -1.0, v44
	v_add_f32_e32 v50, 1.0, v44
	v_add_f32_e32 v47, 1.0, v46
	v_add_f32_e32 v51, -1.0, v50
	v_sub_f32_e32 v47, v44, v47
	v_sub_f32_e32 v44, v44, v51
	v_add_f32_e32 v47, v36, v47
	v_add_f32_e32 v36, v36, v44
	;; [unrolled: 1-line block ×3, first 2 shown]
	v_rcp_f32_e32 v51, v44
	v_add_f32_e32 v49, v46, v47
	v_sub_f32_e32 v46, v46, v49
	v_add_f32_e32 v46, v47, v46
	v_sub_f32_e32 v47, v50, v44
	v_add_f32_e32 v36, v36, v47
	v_mul_f32_e32 v47, v49, v51
	v_mul_f32_e32 v50, v44, v47
	v_fma_f32 v52, v47, v44, -v50
	v_fmac_f32_e32 v52, v47, v36
	v_add_f32_e32 v53, v50, v52
	v_sub_f32_e32 v54, v49, v53
	v_sub_f32_e32 v49, v49, v54
	v_sub_f32_e32 v50, v53, v50
	v_sub_f32_e32 v49, v49, v53
	v_add_f32_e32 v46, v46, v49
	v_sub_f32_e32 v49, v50, v52
	v_add_f32_e32 v46, v49, v46
	v_add_f32_e32 v49, v54, v46
	v_mul_f32_e32 v50, v51, v49
	v_mul_f32_e32 v52, v44, v50
	v_fma_f32 v44, v50, v44, -v52
	v_fmac_f32_e32 v44, v50, v36
	v_sub_f32_e32 v36, v54, v49
	v_add_f32_e32 v36, v46, v36
	v_add_f32_e32 v46, v52, v44
	v_sub_f32_e32 v53, v49, v46
	v_sub_f32_e32 v49, v49, v53
	v_sub_f32_e32 v52, v46, v52
	v_sub_f32_e32 v46, v49, v46
	v_add_f32_e32 v36, v36, v46
	v_sub_f32_e32 v44, v52, v44
	v_add_f32_e32 v36, v44, v36
	v_add_f32_e32 v44, v47, v50
	;; [unrolled: 1-line block ×3, first 2 shown]
	v_sub_f32_e32 v46, v44, v47
	v_mul_f32_e32 v36, v51, v36
	v_sub_f32_e32 v46, v50, v46
	v_add_f32_e32 v36, v46, v36
	v_cvt_f32_i32_e32 v35, v35
	v_add_f32_e32 v46, v44, v36
	v_mul_f32_e32 v47, v46, v46
	v_mov_b32_e32 v49, 0x3ecc95a3
	v_fmac_f32_e32 v49, 0x3e9b6dac, v47
	v_mov_b32_e32 v50, 0x3f2aaada
	v_fmac_f32_e32 v50, v47, v49
	s_mov_b32 s0, 0x3f317218
	v_mul_f32_e32 v49, 0x3f317218, v35
	v_fma_f32 v51, v35, s0, -v49
	v_fmac_f32_e32 v51, 0xb102e308, v35
	v_sub_f32_e32 v35, v46, v44
	v_sub_f32_e32 v35, v36, v35
	v_add_f32_e32 v36, v49, v51
	v_sub_f32_e32 v44, v36, v49
	v_ldexp_f32 v49, v46, 1
	v_mul_f32_e32 v46, v46, v47
	v_mul_f32_e32 v46, v46, v50
	v_add_f32_e32 v47, v49, v46
	v_sub_f32_e32 v49, v47, v49
	v_ldexp_f32 v35, v35, 1
	v_sub_f32_e32 v46, v46, v49
	v_add_f32_e32 v35, v35, v46
	v_add_f32_e32 v46, v47, v35
	v_sub_f32_e32 v47, v46, v47
	v_sub_f32_e32 v35, v35, v47
	v_add_f32_e32 v47, v36, v46
	v_sub_f32_e32 v49, v47, v36
	v_sub_f32_e32 v50, v47, v49
	v_sub_f32_e32 v44, v51, v44
	v_sub_f32_e32 v36, v36, v50
	v_sub_f32_e32 v46, v46, v49
	v_add_f32_e32 v36, v46, v36
	v_add_f32_e32 v46, v44, v35
	v_sub_f32_e32 v49, v46, v44
	v_sub_f32_e32 v50, v46, v49
	;; [unrolled: 1-line block ×4, first 2 shown]
	v_add_f32_e32 v36, v46, v36
	v_add_f32_e32 v35, v35, v44
	;; [unrolled: 1-line block ×3, first 2 shown]
	v_sub_f32_e32 v46, v44, v47
	v_sub_f32_e32 v36, v36, v46
	v_add_f32_e32 v35, v35, v36
	v_add_f32_e32 v35, v44, v35
	v_cmp_neq_f32_e64 s[0:1], s7, v43
	v_cndmask_b32_e64 v35, v42, v35, s[0:1]
	s_mov_b32 s0, 0x33800000
	v_cmp_gt_f32_e64 s[0:1], s0, v43
	v_cndmask_b32_e64 v54, v35, v43, s[0:1]
.LBB6_4:
	s_or_b64 exec, exec, s[2:3]
	s_load_dwordx4 s[36:39], s[4:5], 0x70
	s_mul_i32 s0, s27, s6
	v_mul_f32_e32 v36, v54, v13
	s_mov_b32 s19, 0x3fb8aa3b
	v_mul_f32_e32 v42, v54, v14
	s_waitcnt lgkmcnt(0)
	s_mul_i32 s1, s6, s39
	s_mul_hi_u32 s2, s6, s38
	s_mul_i32 s3, s6, s38
	s_add_i32 s1, s2, s1
	s_mul_hi_u32 s2, s3, 20
	s_mul_i32 s1, s1, 20
	s_add_i32 s2, s2, s1
	s_mul_i32 s3, s3, 20
	s_add_u32 s27, s22, s3
	s_addc_u32 s29, s23, s2
	s_ashr_i32 s18, s31, 2
	s_add_u32 s0, s10, s0
	s_addc_u32 s1, s11, 0
	s_add_u32 s30, s0, s20
	s_addc_u32 s31, s1, s21
	global_load_dword v35, v0, s[30:31]
	v_mul_f32_e32 v43, v54, v15
	v_mul_f32_e32 v46, 0x3fb8aa3b, v36
	s_mov_b32 s7, 0xc2ce8ed0
	s_mov_b32 s24, 0x42b17218
	v_mul_f32_e32 v44, v54, v16
	v_mul_f32_e32 v47, 0x3fb8aa3b, v42
	;; [unrolled: 1-line block ×3, first 2 shown]
	v_fma_f32 v51, v36, s19, -v46
	v_mul_f32_e32 v50, 0x3fb8aa3b, v44
	v_cmp_ngt_f32_e64 s[10:11], s7, v36
	v_cmp_nlt_f32_e64 s[14:15], s24, v36
	v_rndne_f32_e32 v55, v46
	v_fma_f32 v60, v42, s19, -v47
	v_fmac_f32_e32 v51, 0x32a5705f, v36
	v_fma_f32 v36, v43, s19, -v49
	v_cmp_ngt_f32_e64 s[12:13], s7, v42
	v_cmp_ngt_f32_e64 s[4:5], s7, v43
	v_cmp_nlt_f32_e64 s[16:17], s24, v42
	v_cmp_nlt_f32_e64 s[2:3], s24, v43
	v_rndne_f32_e32 v64, v47
	v_fmac_f32_e32 v60, 0x32a5705f, v42
	v_rndne_f32_e32 v42, v49
	v_fmac_f32_e32 v36, 0x32a5705f, v43
	v_fma_f32 v43, v44, s19, -v50
	v_sub_f32_e32 v46, v46, v55
	v_cmp_ngt_f32_e64 s[8:9], s7, v44
	v_cmp_nlt_f32_e64 s[0:1], s24, v44
	v_fmac_f32_e32 v43, 0x32a5705f, v44
	v_rndne_f32_e32 v44, v50
	v_sub_f32_e32 v47, v47, v64
	v_sub_f32_e32 v49, v49, v42
	v_add_f32_e32 v46, v46, v51
	v_mov_b32_e32 v53, 0
	v_sub_f32_e32 v50, v50, v44
	v_add_f32_e32 v47, v47, v60
	v_add_f32_e32 v36, v49, v36
	v_cvt_i32_f32_e32 v49, v55
	v_exp_f32_e32 v46, v46
	ds_read_b128 v[56:59], v53
	ds_read_b128 v[60:63], v53 offset:16
	v_add_f32_e32 v43, v50, v43
	v_cvt_i32_f32_e32 v50, v64
	v_cvt_i32_f32_e32 v42, v42
	v_exp_f32_e32 v47, v47
	v_exp_f32_e32 v36, v36
	v_cvt_i32_f32_e32 v44, v44
	v_exp_f32_e32 v43, v43
	v_ldexp_f32 v46, v46, v49
	v_mov_b32_e32 v52, 0x7f800000
	v_ldexp_f32 v47, v47, v50
	v_ldexp_f32 v64, v36, v42
	v_cndmask_b32_e64 v36, 0, v46, s[10:11]
	v_ldexp_f32 v43, v43, v44
	v_cndmask_b32_e64 v42, 0, v47, s[12:13]
	v_cndmask_b32_e64 v44, v52, v36, s[14:15]
	;; [unrolled: 1-line block ×3, first 2 shown]
	s_add_u32 s12, s27, s20
	s_addc_u32 s13, s29, s21
	v_mov_b32_e32 v36, s13
	s_ashr_i32 s16, s41, 2
	s_ashr_i32 s17, s16, 31
	s_waitcnt vmcnt(0)
	v_mul_f32_e32 v55, v54, v35
	s_waitcnt lgkmcnt(1)
	v_mul_f32_e32 v51, v55, v56
	v_mul_f32_e32 v49, v55, v57
	v_fmac_f32_e32 v51, v29, v44
	v_cndmask_b32_e64 v29, 0, v64, s[4:5]
	v_mul_f32_e32 v50, v55, v58
	v_fmac_f32_e32 v49, v30, v46
	v_cndmask_b32_e64 v30, 0, v43, s[8:9]
	v_cndmask_b32_e64 v29, v52, v29, s[2:3]
	v_mul_f32_e32 v42, v55, v59
	v_fmac_f32_e32 v50, v31, v29
	v_cndmask_b32_e64 v29, v52, v30, s[0:1]
	v_fmac_f32_e32 v42, v32, v29
	v_mul_f32_e32 v29, v54, v9
	v_mul_f32_e32 v30, 0x3fb8aa3b, v29
	v_fma_f32 v32, v29, s19, -v30
	v_rndne_f32_e32 v43, v30
	v_fmac_f32_e32 v32, 0x32a5705f, v29
	v_sub_f32_e32 v30, v30, v43
	v_add_f32_e32 v30, v30, v32
	v_exp_f32_e32 v30, v30
	v_cvt_i32_f32_e32 v32, v43
	v_cmp_ngt_f32_e64 s[0:1], s7, v29
	ds_read_b128 v[56:59], v53 offset:64
	v_mov_b32_e32 v31, s31
	v_ldexp_f32 v30, v30, v32
	v_mul_f32_e32 v32, v54, v10
	v_mul_f32_e32 v43, 0x3fb8aa3b, v32
	v_fma_f32 v44, v32, s19, -v43
	v_rndne_f32_e32 v46, v43
	v_fmac_f32_e32 v44, 0x32a5705f, v32
	v_sub_f32_e32 v43, v43, v46
	v_add_f32_e32 v43, v43, v44
	v_exp_f32_e32 v44, v43
	v_cvt_i32_f32_e32 v46, v46
	v_cndmask_b32_e64 v30, 0, v30, s[0:1]
	v_cmp_nlt_f32_e64 s[0:1], s24, v29
	v_cndmask_b32_e64 v29, v52, v30, s[0:1]
	s_waitcnt lgkmcnt(1)
	v_mul_f32_e32 v43, v55, v60
	v_mul_f32_e32 v30, v54, v11
	v_fmac_f32_e32 v43, v25, v29
	v_mul_f32_e32 v29, 0x3fb8aa3b, v30
	v_ldexp_f32 v25, v44, v46
	v_fma_f32 v44, v30, s19, -v29
	v_rndne_f32_e32 v46, v29
	v_fmac_f32_e32 v44, 0x32a5705f, v30
	v_sub_f32_e32 v29, v29, v46
	v_add_f32_e32 v29, v29, v44
	v_cmp_ngt_f32_e64 s[0:1], s7, v32
	v_exp_f32_e32 v29, v29
	v_cvt_i32_f32_e32 v46, v46
	v_cndmask_b32_e64 v25, 0, v25, s[0:1]
	v_cmp_nlt_f32_e64 s[0:1], s24, v32
	v_cndmask_b32_e64 v25, v52, v25, s[0:1]
	v_mul_f32_e32 v44, v55, v61
	v_mul_f32_e32 v32, v54, v12
	v_fmac_f32_e32 v44, v26, v25
	v_mul_f32_e32 v26, 0x3fb8aa3b, v32
	v_ldexp_f32 v25, v29, v46
	v_fma_f32 v29, v32, s19, -v26
	v_rndne_f32_e32 v46, v26
	v_fmac_f32_e32 v29, 0x32a5705f, v32
	v_sub_f32_e32 v26, v26, v46
	v_add_f32_e32 v26, v26, v29
	v_exp_f32_e32 v47, v26
	v_cvt_i32_f32_e32 v46, v46
	v_cmp_ngt_f32_e64 s[2:3], s7, v30
	v_cndmask_b32_e64 v25, 0, v25, s[2:3]
	v_cmp_nlt_f32_e64 s[2:3], s24, v30
	v_cndmask_b32_e64 v25, v52, v25, s[2:3]
	v_mul_f32_e32 v26, v55, v62
	v_fmac_f32_e32 v26, v27, v25
	v_ldexp_f32 v27, v47, v46
	v_cmp_ngt_f32_e64 s[2:3], s7, v32
	v_cndmask_b32_e64 v27, 0, v27, s[2:3]
	v_cmp_nlt_f32_e64 s[2:3], s24, v32
	v_mul_f32_e32 v25, v55, v63
	v_cndmask_b32_e64 v27, v52, v27, s[2:3]
	v_fmac_f32_e32 v25, v28, v27
	v_mul_f32_e32 v27, v54, v5
	v_mul_f32_e32 v28, 0x3fb8aa3b, v27
	v_fma_f32 v30, v27, s19, -v28
	v_rndne_f32_e32 v32, v28
	v_fmac_f32_e32 v30, 0x32a5705f, v27
	v_sub_f32_e32 v28, v28, v32
	v_add_f32_e32 v28, v28, v30
	v_exp_f32_e32 v28, v28
	v_cvt_i32_f32_e32 v30, v32
	ds_read_b128 v[61:64], v53 offset:32
	v_cmp_ngt_f32_e64 s[2:3], s7, v27
	s_waitcnt lgkmcnt(1)
	v_fma_f32 v56, v56, v51, 0
	v_ldexp_f32 v28, v28, v30
	v_mul_f32_e32 v30, v54, v6
	v_mul_f32_e32 v32, 0x3fb8aa3b, v30
	v_fma_f32 v46, v30, s19, -v32
	v_rndne_f32_e32 v47, v32
	v_fmac_f32_e32 v46, 0x32a5705f, v30
	v_sub_f32_e32 v32, v32, v47
	v_add_f32_e32 v32, v32, v46
	v_cndmask_b32_e64 v28, 0, v28, s[2:3]
	v_exp_f32_e32 v46, v32
	v_cvt_i32_f32_e32 v47, v47
	v_cmp_nlt_f32_e64 s[2:3], s24, v27
	v_cndmask_b32_e64 v27, v52, v28, s[2:3]
	s_waitcnt lgkmcnt(0)
	v_mul_f32_e32 v32, v55, v61
	v_fmac_f32_e32 v32, v21, v27
	v_mul_f32_e32 v27, v54, v7
	v_mul_f32_e32 v28, 0x3fb8aa3b, v27
	v_ldexp_f32 v21, v46, v47
	v_fma_f32 v46, v27, s19, -v28
	v_rndne_f32_e32 v47, v28
	v_fmac_f32_e32 v46, 0x32a5705f, v27
	v_sub_f32_e32 v28, v28, v47
	v_add_f32_e32 v28, v28, v46
	v_exp_f32_e32 v28, v28
	v_cvt_i32_f32_e32 v47, v47
	v_cmp_ngt_f32_e64 s[2:3], s7, v30
	v_cndmask_b32_e64 v21, 0, v21, s[2:3]
	v_cmp_nlt_f32_e64 s[2:3], s24, v30
	v_cndmask_b32_e64 v21, v52, v21, s[2:3]
	v_mul_f32_e32 v46, v55, v62
	v_fmac_f32_e32 v46, v22, v21
	v_ldexp_f32 v21, v28, v47
	v_cmp_ngt_f32_e64 s[2:3], s7, v27
	v_mul_f32_e32 v22, v54, v8
	v_cndmask_b32_e64 v21, 0, v21, s[2:3]
	v_cmp_nlt_f32_e64 s[2:3], s24, v27
	v_mul_f32_e32 v27, 0x3fb8aa3b, v22
	v_fma_f32 v28, v22, s19, -v27
	v_rndne_f32_e32 v30, v27
	v_fmac_f32_e32 v28, 0x32a5705f, v22
	v_sub_f32_e32 v27, v27, v30
	v_add_f32_e32 v27, v27, v28
	v_exp_f32_e32 v27, v27
	v_cvt_i32_f32_e32 v28, v30
	v_cndmask_b32_e64 v21, v52, v21, s[2:3]
	v_mul_f32_e32 v47, v55, v63
	v_fmac_f32_e32 v47, v23, v21
	v_ldexp_f32 v21, v27, v28
	v_cmp_ngt_f32_e64 s[2:3], s7, v22
	v_cndmask_b32_e64 v21, 0, v21, s[2:3]
	v_cmp_nlt_f32_e64 s[2:3], s24, v22
	v_mul_f32_e32 v30, v55, v64
	v_cndmask_b32_e64 v21, v52, v21, s[2:3]
	v_fmac_f32_e32 v30, v24, v21
	v_mul_f32_e32 v21, v54, v1
	v_mul_f32_e32 v22, 0x3fb8aa3b, v21
	v_fma_f32 v23, v21, s19, -v22
	v_rndne_f32_e32 v24, v22
	v_fmac_f32_e32 v23, 0x32a5705f, v21
	v_sub_f32_e32 v22, v22, v24
	v_add_f32_e32 v22, v22, v23
	v_exp_f32_e32 v22, v22
	v_cvt_i32_f32_e32 v23, v24
	v_cmp_ngt_f32_e64 s[2:3], s7, v21
	v_fmac_f32_e32 v56, v57, v49
	v_fmac_f32_e32 v56, v58, v50
	v_ldexp_f32 v22, v22, v23
	v_cndmask_b32_e64 v22, 0, v22, s[2:3]
	v_cmp_nlt_f32_e64 s[2:3], s24, v21
	v_mul_f32_e32 v21, v54, v2
	v_mul_f32_e32 v23, 0x3fb8aa3b, v21
	v_fma_f32 v24, v21, s19, -v23
	v_rndne_f32_e32 v27, v23
	v_fmac_f32_e32 v56, v59, v42
	ds_read_b128 v[57:60], v53 offset:80
	ds_read_b128 v[61:64], v53 offset:48
	v_fmac_f32_e32 v24, 0x32a5705f, v21
	v_sub_f32_e32 v23, v23, v27
	v_add_f32_e32 v23, v23, v24
	v_exp_f32_e32 v23, v23
	v_cvt_i32_f32_e32 v27, v27
	v_cndmask_b32_e64 v22, v52, v22, s[2:3]
	s_waitcnt lgkmcnt(0)
	v_mul_f32_e32 v24, v55, v61
	v_fmac_f32_e32 v24, v17, v22
	v_ldexp_f32 v17, v23, v27
	v_cmp_ngt_f32_e64 s[2:3], s7, v21
	v_cndmask_b32_e64 v17, 0, v17, s[2:3]
	v_cmp_nlt_f32_e64 s[2:3], s24, v21
	v_mul_f32_e32 v21, v54, v3
	v_mul_f32_e32 v22, 0x3fb8aa3b, v21
	v_fma_f32 v23, v21, s19, -v22
	v_rndne_f32_e32 v27, v22
	v_fmac_f32_e32 v23, 0x32a5705f, v21
	v_sub_f32_e32 v22, v22, v27
	v_fmac_f32_e32 v56, v57, v43
	v_add_f32_e32 v22, v22, v23
	v_fmac_f32_e32 v56, v58, v44
	v_exp_f32_e32 v23, v22
	v_cvt_i32_f32_e32 v27, v27
	v_fmac_f32_e32 v56, v59, v26
	v_fmac_f32_e32 v56, v60, v25
	ds_read_b128 v[57:60], v53 offset:96
	v_cndmask_b32_e64 v17, v52, v17, s[2:3]
	v_mul_f32_e32 v22, v55, v62
	v_fmac_f32_e32 v22, v18, v17
	v_ldexp_f32 v17, v23, v27
	v_cmp_ngt_f32_e64 s[2:3], s7, v21
	v_mul_f32_e32 v18, v54, v4
	v_cndmask_b32_e64 v17, 0, v17, s[2:3]
	v_cmp_nlt_f32_e64 s[2:3], s24, v21
	v_mul_f32_e32 v21, 0x3fb8aa3b, v18
	v_fma_f32 v23, v18, s19, -v21
	v_rndne_f32_e32 v27, v21
	s_waitcnt lgkmcnt(0)
	v_fmac_f32_e32 v56, v57, v32
	v_fmac_f32_e32 v23, 0x32a5705f, v18
	v_sub_f32_e32 v21, v21, v27
	v_fmac_f32_e32 v56, v58, v46
	v_add_f32_e32 v21, v21, v23
	v_fmac_f32_e32 v56, v59, v47
	v_exp_f32_e32 v23, v21
	v_cvt_i32_f32_e32 v27, v27
	v_fmac_f32_e32 v56, v60, v30
	ds_read_b128 v[57:60], v53 offset:112
	v_add_co_u32_e64 v29, s[0:1], s30, v0
	v_cndmask_b32_e64 v17, v52, v17, s[2:3]
	v_mul_f32_e32 v21, v55, v63
	v_fmac_f32_e32 v21, v19, v17
	v_ldexp_f32 v17, v23, v27
	v_addc_co_u32_e64 v23, s[0:1], 0, v31, s[0:1]
	v_cmp_ngt_f32_e64 s[0:1], s7, v18
	s_waitcnt lgkmcnt(0)
	v_fmac_f32_e32 v56, v57, v24
	v_cndmask_b32_e64 v17, 0, v17, s[0:1]
	v_cmp_nlt_f32_e64 s[0:1], s24, v18
	v_fmac_f32_e32 v56, v58, v22
	v_cndmask_b32_e64 v17, v52, v17, s[0:1]
	v_mul_f32_e32 v31, v55, v64
	v_add_co_u32_e64 v35, s[10:11], s12, v0
	v_fmac_f32_e32 v56, v59, v21
	v_fmac_f32_e32 v31, v20, v17
	v_addc_co_u32_e64 v36, s[10:11], 0, v36, s[10:11]
	s_ashr_i32 s19, s18, 31
	v_fmac_f32_e32 v56, v60, v31
	global_store_dword v0, v56, s[12:13]
	s_waitcnt vmcnt(0)
	s_barrier
	s_and_saveexec_b64 s[2:3], vcc
	s_cbranch_execz .LBB6_6
; %bb.5:
	s_lshl_b64 s[0:1], s[18:19], 2
	v_mov_b32_e32 v18, s1
	v_add_co_u32_e64 v17, s[0:1], s0, v39
	v_addc_co_u32_e64 v18, s[0:1], v40, v18, s[0:1]
	s_lshl_b64 s[0:1], s[16:17], 2
	global_load_dword v19, v[17:18], off
	v_mov_b32_e32 v18, s1
	v_add_co_u32_e64 v17, s[0:1], s0, v37
	v_addc_co_u32_e64 v18, s[0:1], v38, v18, s[0:1]
	global_load_dword v17, v[17:18], off
	s_waitcnt vmcnt(1)
	ds_write_b32 v0, v19
	s_waitcnt vmcnt(0)
	ds_write_b32 v41, v17
.LBB6_6:
	s_or_b64 exec, exec, s[2:3]
	s_ashr_i32 s0, s28, 2
	s_ashr_i32 s1, s0, 31
	s_lshl_b64 s[20:21], s[0:1], 2
	v_mov_b32_e32 v18, s21
	v_add_co_u32_e64 v17, s[0:1], s20, v45
	v_addc_co_u32_e64 v18, s[0:1], v48, v18, s[0:1]
	s_waitcnt lgkmcnt(0)
	s_barrier
	global_load_dword v52, v[17:18], off
	s_mov_b32 s0, 0x41a00000
	s_waitcnt vmcnt(0)
	v_cmp_ge_f32_e64 s[0:1], s0, v52
	s_and_saveexec_b64 s[2:3], s[0:1]
	s_cbranch_execz .LBB6_8
; %bb.7:
	v_mul_f32_e32 v19, 0x3fb8aa3b, v52
	s_mov_b32 s0, 0x3fb8aa3b
	v_rndne_f32_e32 v20, v19
	v_sub_f32_e32 v27, v19, v20
	v_fma_f32 v19, v52, s0, -v19
	v_fmac_f32_e32 v19, 0x32a5705f, v52
	v_add_f32_e32 v19, v27, v19
	v_exp_f32_e32 v19, v19
	v_cvt_i32_f32_e32 v20, v20
	s_mov_b32 s0, 0xc2ce8ed0
	v_cmp_ngt_f32_e64 s[0:1], s0, v52
	v_mov_b32_e32 v27, 0x7f800000
	v_ldexp_f32 v19, v19, v20
	v_cndmask_b32_e64 v19, 0, v19, s[0:1]
	s_mov_b32 s0, 0x42b17218
	v_cmp_nlt_f32_e64 s[0:1], s0, v52
	v_cndmask_b32_e64 v28, v27, v19, s[0:1]
	v_add_f32_e32 v45, 1.0, v28
	v_cvt_f64_f32_e32 v[19:20], v45
	v_add_f32_e32 v48, -1.0, v45
	v_sub_f32_e32 v52, v48, v45
	v_sub_f32_e32 v48, v28, v48
	v_frexp_exp_i32_f64_e32 v19, v[19:20]
	v_add_f32_e32 v20, 1.0, v52
	v_add_f32_e32 v20, v48, v20
	v_frexp_mant_f32_e32 v48, v45
	s_mov_b32 s0, 0x3f2aaaab
	v_cmp_gt_f32_e64 s[0:1], s0, v48
	s_mov_b32 s4, 0x7f800000
	v_subbrev_co_u32_e64 v19, s[0:1], 0, v19, s[0:1]
	v_sub_u32_e32 v48, 0, v19
	v_ldexp_f32 v45, v45, v48
	v_ldexp_f32 v20, v20, v48
	v_add_f32_e32 v48, -1.0, v45
	v_add_f32_e32 v54, 1.0, v45
	v_add_f32_e32 v52, 1.0, v48
	v_add_f32_e32 v55, -1.0, v54
	v_sub_f32_e32 v52, v45, v52
	v_sub_f32_e32 v45, v45, v55
	v_add_f32_e32 v52, v20, v52
	v_add_f32_e32 v20, v20, v45
	;; [unrolled: 1-line block ×3, first 2 shown]
	v_rcp_f32_e32 v55, v45
	v_add_f32_e32 v53, v48, v52
	v_sub_f32_e32 v48, v48, v53
	v_add_f32_e32 v48, v52, v48
	v_sub_f32_e32 v52, v54, v45
	v_add_f32_e32 v20, v20, v52
	v_mul_f32_e32 v52, v53, v55
	v_mul_f32_e32 v54, v45, v52
	v_fma_f32 v56, v52, v45, -v54
	v_fmac_f32_e32 v56, v52, v20
	v_add_f32_e32 v57, v54, v56
	v_sub_f32_e32 v58, v53, v57
	v_sub_f32_e32 v53, v53, v58
	;; [unrolled: 1-line block ×4, first 2 shown]
	v_add_f32_e32 v48, v48, v53
	v_sub_f32_e32 v53, v54, v56
	v_add_f32_e32 v48, v53, v48
	v_add_f32_e32 v53, v58, v48
	v_mul_f32_e32 v54, v55, v53
	v_mul_f32_e32 v56, v45, v54
	v_fma_f32 v45, v54, v45, -v56
	v_fmac_f32_e32 v45, v54, v20
	v_sub_f32_e32 v20, v58, v53
	v_add_f32_e32 v20, v48, v20
	v_add_f32_e32 v48, v56, v45
	v_sub_f32_e32 v57, v53, v48
	v_sub_f32_e32 v53, v53, v57
	;; [unrolled: 1-line block ×4, first 2 shown]
	v_add_f32_e32 v20, v20, v48
	v_sub_f32_e32 v45, v56, v45
	v_add_f32_e32 v20, v45, v20
	v_add_f32_e32 v45, v52, v54
	;; [unrolled: 1-line block ×3, first 2 shown]
	v_sub_f32_e32 v48, v45, v52
	v_mul_f32_e32 v20, v55, v20
	v_sub_f32_e32 v48, v54, v48
	v_add_f32_e32 v20, v48, v20
	v_cvt_f32_i32_e32 v19, v19
	v_add_f32_e32 v48, v45, v20
	v_mul_f32_e32 v52, v48, v48
	v_mov_b32_e32 v53, 0x3ecc95a3
	v_fmac_f32_e32 v53, 0x3e9b6dac, v52
	v_mov_b32_e32 v54, 0x3f2aaada
	v_fmac_f32_e32 v54, v52, v53
	s_mov_b32 s0, 0x3f317218
	v_mul_f32_e32 v53, 0x3f317218, v19
	v_fma_f32 v55, v19, s0, -v53
	v_fmac_f32_e32 v55, 0xb102e308, v19
	v_sub_f32_e32 v19, v48, v45
	v_sub_f32_e32 v19, v20, v19
	v_add_f32_e32 v20, v53, v55
	v_sub_f32_e32 v45, v20, v53
	v_ldexp_f32 v53, v48, 1
	v_mul_f32_e32 v48, v48, v52
	v_mul_f32_e32 v48, v48, v54
	v_add_f32_e32 v52, v53, v48
	v_sub_f32_e32 v53, v52, v53
	v_ldexp_f32 v19, v19, 1
	v_sub_f32_e32 v48, v48, v53
	v_add_f32_e32 v19, v19, v48
	v_add_f32_e32 v48, v52, v19
	v_sub_f32_e32 v52, v48, v52
	v_sub_f32_e32 v19, v19, v52
	v_add_f32_e32 v52, v20, v48
	v_sub_f32_e32 v53, v52, v20
	v_sub_f32_e32 v54, v52, v53
	v_sub_f32_e32 v45, v55, v45
	v_sub_f32_e32 v20, v20, v54
	v_sub_f32_e32 v48, v48, v53
	v_add_f32_e32 v20, v48, v20
	v_add_f32_e32 v48, v45, v19
	v_sub_f32_e32 v53, v48, v45
	v_sub_f32_e32 v54, v48, v53
	;; [unrolled: 1-line block ×4, first 2 shown]
	v_add_f32_e32 v20, v48, v20
	v_add_f32_e32 v19, v19, v45
	;; [unrolled: 1-line block ×3, first 2 shown]
	v_sub_f32_e32 v48, v45, v52
	v_sub_f32_e32 v20, v20, v48
	v_add_f32_e32 v19, v19, v20
	v_add_f32_e32 v19, v45, v19
	v_cmp_neq_f32_e64 s[0:1], s4, v28
	v_cndmask_b32_e64 v19, v27, v19, s[0:1]
	s_mov_b32 s0, 0x33800000
	v_cmp_gt_f32_e64 s[0:1], s0, v28
	v_cndmask_b32_e64 v52, v19, v28, s[0:1]
.LBB6_8:
	s_or_b64 exec, exec, s[2:3]
	s_ashr_i32 s0, s26, 2
	s_ashr_i32 s1, s0, 31
	s_lshl_b64 s[26:27], s[0:1], 2
	v_add_co_u32_e64 v19, s[0:1], s26, v29
	v_mov_b32_e32 v20, s27
	v_addc_co_u32_e64 v20, s[0:1], v23, v20, s[0:1]
	global_load_dword v23, v[19:20], off
	v_mov_b32_e32 v48, 0
	ds_read_b128 v[54:57], v48
	v_mul_f32_e32 v45, v52, v13
	s_mov_b32 s7, 0x3fb8aa3b
	v_mul_f32_e32 v58, v52, v14
	v_mul_f32_e32 v60, 0x3fb8aa3b, v45
	s_mov_b32 s24, 0xc2ce8ed0
	s_mov_b32 s28, 0x42b17218
	v_mul_f32_e32 v59, v52, v15
	v_mul_f32_e32 v61, 0x3fb8aa3b, v58
	v_cmp_ngt_f32_e64 s[2:3], s24, v45
	v_cmp_nlt_f32_e64 s[4:5], s28, v45
	v_mul_f32_e32 v62, 0x3fb8aa3b, v59
	v_cmp_ngt_f32_e64 s[8:9], s24, v58
	v_cmp_nlt_f32_e64 s[0:1], s28, v58
	v_cmp_ngt_f32_e64 s[12:13], s24, v59
	v_cmp_nlt_f32_e64 s[10:11], s28, v59
	v_mul_f32_e32 v64, v52, v16
	v_mul_f32_e32 v67, v52, v9
	s_mov_b32 s14, 0
	s_mov_b32 s15, s38
	s_waitcnt vmcnt(0)
	v_mul_f32_e32 v53, v52, v23
	s_waitcnt lgkmcnt(0)
	v_mul_f32_e32 v27, v53, v55
	v_fma_f32 v55, v45, s7, -v60
	v_fmac_f32_e32 v55, 0x32a5705f, v45
	v_fma_f32 v45, v58, s7, -v61
	v_mul_f32_e32 v28, v53, v56
	v_mul_f32_e32 v23, v53, v57
	v_rndne_f32_e32 v56, v60
	v_fmac_f32_e32 v45, 0x32a5705f, v58
	v_fma_f32 v57, v59, s7, -v62
	v_rndne_f32_e32 v58, v61
	v_fmac_f32_e32 v57, 0x32a5705f, v59
	v_sub_f32_e32 v59, v60, v56
	v_sub_f32_e32 v60, v61, v58
	v_add_f32_e32 v45, v60, v45
	v_cvt_i32_f32_e32 v58, v58
	v_exp_f32_e32 v45, v45
	v_mul_f32_e32 v29, v53, v54
	v_mul_f32_e32 v54, 0x3fb8aa3b, v64
	v_add_f32_e32 v55, v59, v55
	v_rndne_f32_e32 v59, v62
	v_fma_f32 v60, v64, s7, -v54
	v_rndne_f32_e32 v65, v54
	v_sub_f32_e32 v61, v62, v59
	v_fmac_f32_e32 v60, 0x32a5705f, v64
	v_sub_f32_e32 v54, v54, v65
	v_cvt_i32_f32_e32 v56, v56
	v_exp_f32_e32 v55, v55
	v_ldexp_f32 v45, v45, v58
	v_add_f32_e32 v57, v61, v57
	v_add_f32_e32 v66, v54, v60
	v_mov_b32_e32 v54, 0x7f800000
	v_cndmask_b32_e64 v45, 0, v45, s[8:9]
	v_cvt_i32_f32_e32 v59, v59
	v_exp_f32_e32 v57, v57
	v_cndmask_b32_e64 v45, v54, v45, s[0:1]
	v_fmac_f32_e32 v27, v49, v45
	v_cvt_i32_f32_e32 v45, v65
	v_exp_f32_e32 v49, v66
	v_ldexp_f32 v55, v55, v56
	v_cndmask_b32_e64 v55, 0, v55, s[2:3]
	v_ldexp_f32 v60, v57, v59
	v_cndmask_b32_e64 v55, v54, v55, s[4:5]
	v_fmac_f32_e32 v29, v51, v55
	v_cndmask_b32_e64 v51, 0, v60, s[12:13]
	v_cmp_ngt_f32_e64 s[0:1], s24, v64
	v_ldexp_f32 v45, v49, v45
	v_cndmask_b32_e64 v51, v54, v51, s[10:11]
	v_cmp_nlt_f32_e64 s[2:3], s28, v64
	v_cndmask_b32_e64 v45, 0, v45, s[0:1]
	v_fmac_f32_e32 v28, v50, v51
	v_mul_f32_e32 v50, 0x3fb8aa3b, v67
	v_cndmask_b32_e64 v45, v54, v45, s[2:3]
	v_fma_f32 v49, v67, s7, -v50
	v_fmac_f32_e32 v23, v42, v45
	v_rndne_f32_e32 v42, v50
	v_fmac_f32_e32 v49, 0x32a5705f, v67
	v_sub_f32_e32 v45, v50, v42
	v_add_f32_e32 v45, v45, v49
	v_exp_f32_e32 v45, v45
	v_cvt_i32_f32_e32 v42, v42
	ds_read_b128 v[56:59], v48 offset:16
	ds_read_b128 v[60:63], v48 offset:64
	v_cmp_ngt_f32_e64 s[0:1], s24, v67
	v_ldexp_f32 v42, v45, v42
	v_mul_f32_e32 v45, v52, v10
	v_mul_f32_e32 v49, 0x3fb8aa3b, v45
	v_fma_f32 v50, v45, s7, -v49
	v_rndne_f32_e32 v51, v49
	v_fmac_f32_e32 v50, 0x32a5705f, v45
	v_sub_f32_e32 v49, v49, v51
	v_add_f32_e32 v49, v49, v50
	v_exp_f32_e32 v49, v49
	v_cvt_i32_f32_e32 v51, v51
	v_cndmask_b32_e64 v42, 0, v42, s[0:1]
	v_cmp_nlt_f32_e64 s[0:1], s28, v67
	v_cndmask_b32_e64 v42, v54, v42, s[0:1]
	s_waitcnt lgkmcnt(1)
	v_mul_f32_e32 v50, v53, v56
	v_fmac_f32_e32 v50, v43, v42
	v_ldexp_f32 v42, v49, v51
	v_cmp_ngt_f32_e64 s[0:1], s24, v45
	v_mul_f32_e32 v43, v52, v11
	v_cndmask_b32_e64 v42, 0, v42, s[0:1]
	v_cmp_nlt_f32_e64 s[0:1], s28, v45
	v_mul_f32_e32 v45, 0x3fb8aa3b, v43
	v_fma_f32 v49, v43, s7, -v45
	v_rndne_f32_e32 v51, v45
	v_fmac_f32_e32 v49, 0x32a5705f, v43
	v_sub_f32_e32 v45, v45, v51
	v_add_f32_e32 v45, v45, v49
	v_exp_f32_e32 v45, v45
	v_cvt_i32_f32_e32 v49, v51
	v_cndmask_b32_e64 v42, v54, v42, s[0:1]
	v_mul_f32_e32 v51, v53, v57
	v_fmac_f32_e32 v51, v44, v42
	v_ldexp_f32 v42, v45, v49
	v_cmp_ngt_f32_e64 s[0:1], s24, v43
	v_cndmask_b32_e64 v42, 0, v42, s[0:1]
	v_cmp_nlt_f32_e64 s[0:1], s28, v43
	v_cndmask_b32_e64 v42, v54, v42, s[0:1]
	v_mul_f32_e32 v43, v53, v58
	v_fmac_f32_e32 v43, v26, v42
	v_mul_f32_e32 v26, v52, v12
	v_mul_f32_e32 v42, 0x3fb8aa3b, v26
	v_fma_f32 v44, v26, s7, -v42
	v_rndne_f32_e32 v45, v42
	v_fmac_f32_e32 v44, 0x32a5705f, v26
	v_sub_f32_e32 v42, v42, v45
	v_add_f32_e32 v42, v42, v44
	v_exp_f32_e32 v44, v42
	v_cvt_i32_f32_e32 v45, v45
	v_cmp_ngt_f32_e64 s[0:1], s24, v26
	v_mul_f32_e32 v42, v53, v59
	s_waitcnt lgkmcnt(0)
	v_fma_f32 v55, v60, v29, 0
	v_ldexp_f32 v44, v44, v45
	v_cndmask_b32_e64 v44, 0, v44, s[0:1]
	v_cmp_nlt_f32_e64 s[0:1], s28, v26
	v_cndmask_b32_e64 v26, v54, v44, s[0:1]
	v_fmac_f32_e32 v42, v25, v26
	v_mul_f32_e32 v25, v52, v5
	v_mul_f32_e32 v26, 0x3fb8aa3b, v25
	v_fma_f32 v44, v25, s7, -v26
	v_rndne_f32_e32 v45, v26
	v_fmac_f32_e32 v44, 0x32a5705f, v25
	v_sub_f32_e32 v26, v26, v45
	v_add_f32_e32 v26, v26, v44
	v_exp_f32_e32 v26, v26
	v_cvt_i32_f32_e32 v44, v45
	v_cmp_ngt_f32_e64 s[0:1], s24, v25
	v_fmac_f32_e32 v55, v61, v27
	v_fmac_f32_e32 v55, v62, v28
	v_ldexp_f32 v26, v26, v44
	v_cndmask_b32_e64 v26, 0, v26, s[0:1]
	v_cmp_nlt_f32_e64 s[0:1], s28, v25
	v_mul_f32_e32 v25, v52, v6
	v_mul_f32_e32 v44, 0x3fb8aa3b, v25
	v_fma_f32 v45, v25, s7, -v44
	v_rndne_f32_e32 v49, v44
	v_fmac_f32_e32 v55, v63, v23
	ds_read_b128 v[60:63], v48 offset:80
	ds_read_b128 v[56:59], v48 offset:32
	v_fmac_f32_e32 v45, 0x32a5705f, v25
	v_sub_f32_e32 v44, v44, v49
	v_add_f32_e32 v44, v44, v45
	v_exp_f32_e32 v45, v44
	v_cvt_i32_f32_e32 v49, v49
	v_cndmask_b32_e64 v26, v54, v26, s[0:1]
	s_waitcnt lgkmcnt(0)
	v_mul_f32_e32 v44, v53, v56
	v_fmac_f32_e32 v44, v32, v26
	v_ldexp_f32 v26, v45, v49
	v_cmp_ngt_f32_e64 s[0:1], s24, v25
	v_cndmask_b32_e64 v26, 0, v26, s[0:1]
	v_cmp_nlt_f32_e64 s[0:1], s28, v25
	v_cndmask_b32_e64 v25, v54, v26, s[0:1]
	v_mul_f32_e32 v26, v52, v7
	v_mul_f32_e32 v32, 0x3fb8aa3b, v26
	v_fma_f32 v45, v26, s7, -v32
	v_rndne_f32_e32 v49, v32
	v_fmac_f32_e32 v45, 0x32a5705f, v26
	v_sub_f32_e32 v32, v32, v49
	v_add_f32_e32 v32, v32, v45
	v_exp_f32_e32 v32, v32
	v_cvt_i32_f32_e32 v49, v49
	v_mul_f32_e32 v45, v53, v57
	v_fmac_f32_e32 v45, v46, v25
	v_cmp_ngt_f32_e64 s[0:1], s24, v26
	v_ldexp_f32 v25, v32, v49
	v_cndmask_b32_e64 v25, 0, v25, s[0:1]
	v_cmp_nlt_f32_e64 s[0:1], s28, v26
	v_cndmask_b32_e64 v25, v54, v25, s[0:1]
	v_mul_f32_e32 v46, v53, v58
	v_fmac_f32_e32 v46, v47, v25
	v_mul_f32_e32 v25, v52, v8
	v_mul_f32_e32 v26, 0x3fb8aa3b, v25
	v_fma_f32 v32, v25, s7, -v26
	v_rndne_f32_e32 v47, v26
	v_fmac_f32_e32 v32, 0x32a5705f, v25
	v_sub_f32_e32 v26, v26, v47
	v_add_f32_e32 v26, v26, v32
	v_exp_f32_e32 v26, v26
	v_cvt_i32_f32_e32 v47, v47
	v_cmp_ngt_f32_e64 s[0:1], s24, v25
	v_mul_f32_e32 v32, v53, v59
	v_fmac_f32_e32 v55, v60, v50
	v_ldexp_f32 v26, v26, v47
	v_cndmask_b32_e64 v26, 0, v26, s[0:1]
	v_cmp_nlt_f32_e64 s[0:1], s28, v25
	v_cndmask_b32_e64 v25, v54, v26, s[0:1]
	v_fmac_f32_e32 v32, v30, v25
	v_mul_f32_e32 v25, v52, v1
	v_mul_f32_e32 v26, 0x3fb8aa3b, v25
	v_fma_f32 v30, v25, s7, -v26
	v_rndne_f32_e32 v47, v26
	v_fmac_f32_e32 v55, v61, v51
	v_fmac_f32_e32 v30, 0x32a5705f, v25
	v_sub_f32_e32 v26, v26, v47
	v_fmac_f32_e32 v55, v62, v43
	v_add_f32_e32 v26, v26, v30
	v_fmac_f32_e32 v55, v63, v42
	ds_read_b128 v[60:63], v48 offset:96
	ds_read_b128 v[56:59], v48 offset:48
	v_exp_f32_e32 v26, v26
	v_cvt_i32_f32_e32 v30, v47
	v_cmp_ngt_f32_e64 s[0:1], s24, v25
	s_waitcnt lgkmcnt(1)
	v_fmac_f32_e32 v55, v60, v44
	v_fmac_f32_e32 v55, v61, v45
	v_ldexp_f32 v26, v26, v30
	v_cndmask_b32_e64 v26, 0, v26, s[0:1]
	v_cmp_nlt_f32_e64 s[0:1], s28, v25
	v_cndmask_b32_e64 v25, v54, v26, s[0:1]
	v_mul_f32_e32 v26, v52, v2
	v_fmac_f32_e32 v55, v62, v46
	v_mul_f32_e32 v30, 0x3fb8aa3b, v26
	v_fmac_f32_e32 v55, v63, v32
	ds_read_b128 v[60:63], v48 offset:112
	v_fma_f32 v47, v26, s7, -v30
	v_rndne_f32_e32 v48, v30
	v_fmac_f32_e32 v47, 0x32a5705f, v26
	v_sub_f32_e32 v30, v30, v48
	v_add_f32_e32 v30, v30, v47
	v_exp_f32_e32 v30, v30
	v_cvt_i32_f32_e32 v48, v48
	s_waitcnt lgkmcnt(1)
	v_mul_f32_e32 v47, v53, v56
	v_fmac_f32_e32 v47, v24, v25
	v_cmp_ngt_f32_e64 s[0:1], s24, v26
	v_ldexp_f32 v24, v30, v48
	v_mul_f32_e32 v25, v52, v3
	v_cndmask_b32_e64 v24, 0, v24, s[0:1]
	v_cmp_nlt_f32_e64 s[0:1], s28, v26
	v_mul_f32_e32 v26, 0x3fb8aa3b, v25
	v_fma_f32 v30, v25, s7, -v26
	v_rndne_f32_e32 v48, v26
	v_fmac_f32_e32 v30, 0x32a5705f, v25
	v_sub_f32_e32 v26, v26, v48
	v_add_f32_e32 v26, v26, v30
	v_exp_f32_e32 v26, v26
	v_cvt_i32_f32_e32 v30, v48
	v_cndmask_b32_e64 v24, v54, v24, s[0:1]
	v_mul_f32_e32 v48, v53, v57
	v_fmac_f32_e32 v48, v22, v24
	v_ldexp_f32 v22, v26, v30
	v_cmp_ngt_f32_e64 s[0:1], s24, v25
	v_mul_f32_e32 v24, v52, v4
	v_cndmask_b32_e64 v22, 0, v22, s[0:1]
	v_cmp_nlt_f32_e64 s[0:1], s28, v25
	v_mul_f32_e32 v25, 0x3fb8aa3b, v24
	v_fma_f32 v26, v24, s7, -v25
	v_rndne_f32_e32 v30, v25
	v_fmac_f32_e32 v26, 0x32a5705f, v24
	v_sub_f32_e32 v25, v25, v30
	v_add_f32_e32 v25, v25, v26
	v_exp_f32_e32 v25, v25
	v_cvt_i32_f32_e32 v26, v30
	v_cndmask_b32_e64 v22, v54, v22, s[0:1]
	v_mul_f32_e32 v49, v53, v58
	v_fmac_f32_e32 v49, v21, v22
	v_ldexp_f32 v21, v25, v26
	v_cmp_ngt_f32_e64 s[0:1], s24, v24
	s_waitcnt lgkmcnt(0)
	v_fmac_f32_e32 v55, v60, v47
	v_cndmask_b32_e64 v21, 0, v21, s[0:1]
	v_cmp_nlt_f32_e64 s[0:1], s28, v24
	v_fmac_f32_e32 v55, v61, v48
	v_cndmask_b32_e64 v21, v54, v21, s[0:1]
	v_mul_f32_e32 v24, v53, v59
	s_ashr_i64 s[2:3], s[14:15], 30
	v_fmac_f32_e32 v55, v62, v49
	v_fmac_f32_e32 v24, v31, v21
	v_add_co_u32_e64 v21, s[0:1], s2, v35
	v_mov_b32_e32 v22, s3
	v_fmac_f32_e32 v55, v63, v24
	v_addc_co_u32_e64 v22, s[0:1], v36, v22, s[0:1]
	global_store_dword v[21:22], v55, off
	s_waitcnt vmcnt(0)
	s_barrier
	s_and_saveexec_b64 s[2:3], vcc
	s_cbranch_execz .LBB6_10
; %bb.9:
	s_lshl_b64 s[0:1], s[18:19], 3
	v_mov_b32_e32 v22, s1
	v_add_co_u32_e64 v21, s[0:1], s0, v39
	v_addc_co_u32_e64 v22, s[0:1], v40, v22, s[0:1]
	s_lshl_b64 s[0:1], s[16:17], 3
	global_load_dword v25, v[21:22], off
	v_mov_b32_e32 v22, s1
	v_add_co_u32_e64 v21, s[0:1], s0, v37
	v_addc_co_u32_e64 v22, s[0:1], v38, v22, s[0:1]
	global_load_dword v21, v[21:22], off
	s_waitcnt vmcnt(1)
	ds_write_b32 v0, v25
	s_waitcnt vmcnt(0)
	ds_write_b32 v41, v21
.LBB6_10:
	s_or_b64 exec, exec, s[2:3]
	v_mov_b32_e32 v22, s21
	v_add_co_u32_e64 v21, s[0:1], s20, v17
	v_addc_co_u32_e64 v22, s[0:1], v18, v22, s[0:1]
	s_waitcnt lgkmcnt(0)
	s_barrier
	global_load_dword v53, v[21:22], off
	s_mov_b32 s0, 0x41a00000
	s_waitcnt vmcnt(0)
	v_cmp_ge_f32_e64 s[0:1], s0, v53
	s_and_saveexec_b64 s[2:3], s[0:1]
	s_cbranch_execz .LBB6_12
; %bb.11:
	v_mul_f32_e32 v17, 0x3fb8aa3b, v53
	s_mov_b32 s0, 0x3fb8aa3b
	v_rndne_f32_e32 v18, v17
	v_sub_f32_e32 v25, v17, v18
	v_fma_f32 v17, v53, s0, -v17
	v_fmac_f32_e32 v17, 0x32a5705f, v53
	v_add_f32_e32 v17, v25, v17
	v_exp_f32_e32 v17, v17
	v_cvt_i32_f32_e32 v18, v18
	s_mov_b32 s0, 0xc2ce8ed0
	v_cmp_ngt_f32_e64 s[0:1], s0, v53
	v_mov_b32_e32 v25, 0x7f800000
	v_ldexp_f32 v17, v17, v18
	v_cndmask_b32_e64 v17, 0, v17, s[0:1]
	s_mov_b32 s0, 0x42b17218
	v_cmp_nlt_f32_e64 s[0:1], s0, v53
	v_cndmask_b32_e64 v26, v25, v17, s[0:1]
	v_add_f32_e32 v30, 1.0, v26
	v_cvt_f64_f32_e32 v[17:18], v30
	v_add_f32_e32 v31, -1.0, v30
	v_sub_f32_e32 v52, v31, v30
	v_sub_f32_e32 v31, v26, v31
	v_frexp_exp_i32_f64_e32 v17, v[17:18]
	v_add_f32_e32 v18, 1.0, v52
	v_add_f32_e32 v18, v31, v18
	v_frexp_mant_f32_e32 v31, v30
	s_mov_b32 s0, 0x3f2aaaab
	v_cmp_gt_f32_e64 s[0:1], s0, v31
	s_mov_b32 s4, 0x7f800000
	v_subbrev_co_u32_e64 v17, s[0:1], 0, v17, s[0:1]
	v_sub_u32_e32 v31, 0, v17
	v_ldexp_f32 v30, v30, v31
	v_ldexp_f32 v18, v18, v31
	v_add_f32_e32 v31, -1.0, v30
	v_add_f32_e32 v54, 1.0, v30
	v_add_f32_e32 v52, 1.0, v31
	v_add_f32_e32 v55, -1.0, v54
	v_sub_f32_e32 v52, v30, v52
	v_sub_f32_e32 v30, v30, v55
	v_add_f32_e32 v52, v18, v52
	v_add_f32_e32 v18, v18, v30
	;; [unrolled: 1-line block ×3, first 2 shown]
	v_rcp_f32_e32 v55, v30
	v_add_f32_e32 v53, v31, v52
	v_sub_f32_e32 v31, v31, v53
	v_add_f32_e32 v31, v52, v31
	v_sub_f32_e32 v52, v54, v30
	v_add_f32_e32 v18, v18, v52
	v_mul_f32_e32 v52, v53, v55
	v_mul_f32_e32 v54, v30, v52
	v_fma_f32 v56, v52, v30, -v54
	v_fmac_f32_e32 v56, v52, v18
	v_add_f32_e32 v57, v54, v56
	v_sub_f32_e32 v58, v53, v57
	v_sub_f32_e32 v53, v53, v58
	;; [unrolled: 1-line block ×4, first 2 shown]
	v_add_f32_e32 v31, v31, v53
	v_sub_f32_e32 v53, v54, v56
	v_add_f32_e32 v31, v53, v31
	v_add_f32_e32 v53, v58, v31
	v_mul_f32_e32 v54, v55, v53
	v_mul_f32_e32 v56, v30, v54
	v_fma_f32 v30, v54, v30, -v56
	v_fmac_f32_e32 v30, v54, v18
	v_sub_f32_e32 v18, v58, v53
	v_add_f32_e32 v18, v31, v18
	v_add_f32_e32 v31, v56, v30
	v_sub_f32_e32 v57, v53, v31
	v_sub_f32_e32 v53, v53, v57
	v_sub_f32_e32 v56, v31, v56
	v_sub_f32_e32 v31, v53, v31
	v_add_f32_e32 v18, v18, v31
	v_sub_f32_e32 v30, v56, v30
	v_add_f32_e32 v18, v30, v18
	v_add_f32_e32 v30, v52, v54
	;; [unrolled: 1-line block ×3, first 2 shown]
	v_sub_f32_e32 v31, v30, v52
	v_mul_f32_e32 v18, v55, v18
	v_sub_f32_e32 v31, v54, v31
	v_add_f32_e32 v18, v31, v18
	v_cvt_f32_i32_e32 v17, v17
	v_add_f32_e32 v31, v30, v18
	v_mul_f32_e32 v52, v31, v31
	v_mov_b32_e32 v53, 0x3ecc95a3
	v_fmac_f32_e32 v53, 0x3e9b6dac, v52
	v_mov_b32_e32 v54, 0x3f2aaada
	v_fmac_f32_e32 v54, v52, v53
	s_mov_b32 s0, 0x3f317218
	v_mul_f32_e32 v53, 0x3f317218, v17
	v_fma_f32 v55, v17, s0, -v53
	v_fmac_f32_e32 v55, 0xb102e308, v17
	v_sub_f32_e32 v17, v31, v30
	v_sub_f32_e32 v17, v18, v17
	v_add_f32_e32 v18, v53, v55
	v_sub_f32_e32 v30, v18, v53
	v_ldexp_f32 v53, v31, 1
	v_mul_f32_e32 v31, v31, v52
	v_mul_f32_e32 v31, v31, v54
	v_add_f32_e32 v52, v53, v31
	v_sub_f32_e32 v53, v52, v53
	v_ldexp_f32 v17, v17, 1
	v_sub_f32_e32 v31, v31, v53
	v_add_f32_e32 v17, v17, v31
	v_add_f32_e32 v31, v52, v17
	v_sub_f32_e32 v52, v31, v52
	v_sub_f32_e32 v17, v17, v52
	v_add_f32_e32 v52, v18, v31
	v_sub_f32_e32 v53, v52, v18
	v_sub_f32_e32 v54, v52, v53
	;; [unrolled: 1-line block ×5, first 2 shown]
	v_add_f32_e32 v18, v31, v18
	v_add_f32_e32 v31, v30, v17
	v_sub_f32_e32 v53, v31, v30
	v_sub_f32_e32 v54, v31, v53
	;; [unrolled: 1-line block ×4, first 2 shown]
	v_add_f32_e32 v18, v31, v18
	v_add_f32_e32 v17, v17, v30
	;; [unrolled: 1-line block ×3, first 2 shown]
	v_sub_f32_e32 v31, v30, v52
	v_sub_f32_e32 v18, v18, v31
	v_add_f32_e32 v17, v17, v18
	v_add_f32_e32 v17, v30, v17
	v_cmp_neq_f32_e64 s[0:1], s4, v26
	v_cndmask_b32_e64 v17, v25, v17, s[0:1]
	s_mov_b32 s0, 0x33800000
	v_cmp_gt_f32_e64 s[0:1], s0, v26
	v_cndmask_b32_e64 v53, v17, v26, s[0:1]
.LBB6_12:
	s_or_b64 exec, exec, s[2:3]
	v_add_co_u32_e64 v17, s[0:1], s26, v19
	v_mov_b32_e32 v18, s27
	v_addc_co_u32_e64 v18, s[0:1], v20, v18, s[0:1]
	global_load_dword v19, v[17:18], off
	v_mov_b32_e32 v20, 0
	ds_read_b128 v[54:57], v20
	v_mul_f32_e32 v52, v53, v13
	v_mul_f32_e32 v59, v53, v15
	;; [unrolled: 1-line block ×6, first 2 shown]
	v_cmp_ngt_f32_e64 s[2:3], s24, v52
	v_cmp_nlt_f32_e64 s[4:5], s28, v52
	v_cmp_ngt_f32_e64 s[12:13], s24, v59
	v_cmp_nlt_f32_e64 s[10:11], s28, v59
	;; [unrolled: 2-line block ×3, first 2 shown]
	v_mul_f32_e32 v63, v53, v16
	v_mul_f32_e32 v66, v53, v9
	s_waitcnt vmcnt(0)
	v_mul_f32_e32 v19, v53, v19
	s_waitcnt lgkmcnt(0)
	v_mul_f32_e32 v26, v19, v55
	v_mul_f32_e32 v30, v19, v56
	v_mul_f32_e32 v25, v19, v57
	v_fma_f32 v55, v52, s7, -v60
	v_rndne_f32_e32 v56, v60
	v_fma_f32 v57, v59, s7, -v62
	v_fmac_f32_e32 v55, 0x32a5705f, v52
	v_fma_f32 v52, v58, s7, -v61
	v_fmac_f32_e32 v57, 0x32a5705f, v59
	v_sub_f32_e32 v59, v60, v56
	v_fmac_f32_e32 v52, 0x32a5705f, v58
	v_rndne_f32_e32 v58, v61
	v_add_f32_e32 v55, v59, v55
	v_rndne_f32_e32 v59, v62
	v_sub_f32_e32 v60, v61, v58
	v_sub_f32_e32 v61, v62, v59
	v_cvt_i32_f32_e32 v56, v56
	v_exp_f32_e32 v55, v55
	v_add_f32_e32 v52, v60, v52
	v_add_f32_e32 v57, v61, v57
	v_mul_f32_e32 v31, v19, v54
	v_mul_f32_e32 v54, 0x3fb8aa3b, v63
	v_cvt_i32_f32_e32 v58, v58
	v_cvt_i32_f32_e32 v59, v59
	v_exp_f32_e32 v52, v52
	v_exp_f32_e32 v57, v57
	v_fma_f32 v60, v63, s7, -v54
	v_rndne_f32_e32 v64, v54
	v_fmac_f32_e32 v60, 0x32a5705f, v63
	v_sub_f32_e32 v54, v54, v64
	v_ldexp_f32 v55, v55, v56
	v_add_f32_e32 v65, v54, v60
	v_mov_b32_e32 v54, 0x7f800000
	v_cndmask_b32_e64 v55, 0, v55, s[2:3]
	v_ldexp_f32 v52, v52, v58
	v_ldexp_f32 v59, v57, v59
	v_cndmask_b32_e64 v55, v54, v55, s[4:5]
	v_fmac_f32_e32 v31, v29, v55
	v_cndmask_b32_e64 v29, 0, v52, s[8:9]
	v_cndmask_b32_e64 v52, 0, v59, s[12:13]
	v_cndmask_b32_e64 v29, v54, v29, s[0:1]
	v_cndmask_b32_e64 v52, v54, v52, s[10:11]
	v_fmac_f32_e32 v26, v27, v29
	v_fmac_f32_e32 v30, v28, v52
	v_cvt_i32_f32_e32 v27, v64
	v_exp_f32_e32 v28, v65
	v_cmp_ngt_f32_e64 s[0:1], s24, v63
	v_cmp_nlt_f32_e64 s[2:3], s28, v63
	v_mul_f32_e32 v29, 0x3fb8aa3b, v66
	v_ldexp_f32 v27, v28, v27
	v_cndmask_b32_e64 v27, 0, v27, s[0:1]
	v_cndmask_b32_e64 v27, v54, v27, s[2:3]
	v_fma_f32 v28, v66, s7, -v29
	v_fmac_f32_e32 v25, v23, v27
	v_rndne_f32_e32 v27, v29
	v_fmac_f32_e32 v28, 0x32a5705f, v66
	v_sub_f32_e32 v29, v29, v27
	v_add_f32_e32 v28, v29, v28
	v_exp_f32_e32 v28, v28
	v_cvt_i32_f32_e32 v27, v27
	ds_read_b128 v[55:58], v20 offset:16
	ds_read_b128 v[59:62], v20 offset:64
	v_cmp_ngt_f32_e64 s[0:1], s24, v66
	v_ldexp_f32 v27, v28, v27
	v_mul_f32_e32 v28, v53, v10
	v_mul_f32_e32 v29, 0x3fb8aa3b, v28
	s_waitcnt lgkmcnt(0)
	v_fma_f32 v23, v59, v31, 0
	v_fma_f32 v52, v28, s7, -v29
	v_rndne_f32_e32 v59, v29
	v_fmac_f32_e32 v52, 0x32a5705f, v28
	v_sub_f32_e32 v29, v29, v59
	v_add_f32_e32 v29, v29, v52
	v_exp_f32_e32 v29, v29
	v_cvt_i32_f32_e32 v59, v59
	v_cndmask_b32_e64 v27, 0, v27, s[0:1]
	v_cmp_nlt_f32_e64 s[0:1], s28, v66
	v_cndmask_b32_e64 v27, v54, v27, s[0:1]
	v_mul_f32_e32 v52, v19, v55
	v_fmac_f32_e32 v52, v50, v27
	v_ldexp_f32 v27, v29, v59
	v_cmp_ngt_f32_e64 s[0:1], s24, v28
	v_cndmask_b32_e64 v27, 0, v27, s[0:1]
	v_cmp_nlt_f32_e64 s[0:1], s28, v28
	v_mul_f32_e32 v28, v53, v11
	v_mul_f32_e32 v29, 0x3fb8aa3b, v28
	v_fma_f32 v50, v28, s7, -v29
	v_rndne_f32_e32 v55, v29
	v_fmac_f32_e32 v50, 0x32a5705f, v28
	v_sub_f32_e32 v29, v29, v55
	v_add_f32_e32 v29, v29, v50
	v_exp_f32_e32 v29, v29
	v_cvt_i32_f32_e32 v55, v55
	v_cndmask_b32_e64 v27, v54, v27, s[0:1]
	v_mul_f32_e32 v50, v19, v56
	v_fmac_f32_e32 v50, v51, v27
	v_ldexp_f32 v27, v29, v55
	v_cmp_ngt_f32_e64 s[0:1], s24, v28
	v_cndmask_b32_e64 v27, 0, v27, s[0:1]
	v_cmp_nlt_f32_e64 s[0:1], s28, v28
	v_cndmask_b32_e64 v27, v54, v27, s[0:1]
	v_mul_f32_e32 v51, v19, v57
	v_fmac_f32_e32 v51, v43, v27
	v_mul_f32_e32 v27, v53, v12
	v_mul_f32_e32 v28, 0x3fb8aa3b, v27
	v_fma_f32 v29, v27, s7, -v28
	v_rndne_f32_e32 v43, v28
	v_fmac_f32_e32 v29, 0x32a5705f, v27
	v_sub_f32_e32 v28, v28, v43
	v_add_f32_e32 v28, v28, v29
	v_exp_f32_e32 v28, v28
	v_cvt_i32_f32_e32 v43, v43
	v_cmp_ngt_f32_e64 s[0:1], s24, v27
	v_mul_f32_e32 v29, v19, v58
	v_fmac_f32_e32 v23, v60, v26
	v_ldexp_f32 v28, v28, v43
	v_cndmask_b32_e64 v28, 0, v28, s[0:1]
	v_cmp_nlt_f32_e64 s[0:1], s28, v27
	v_cndmask_b32_e64 v27, v54, v28, s[0:1]
	v_fmac_f32_e32 v29, v42, v27
	v_mul_f32_e32 v27, v53, v5
	v_mul_f32_e32 v28, 0x3fb8aa3b, v27
	v_fma_f32 v42, v27, s7, -v28
	v_rndne_f32_e32 v43, v28
	v_fmac_f32_e32 v42, 0x32a5705f, v27
	v_sub_f32_e32 v28, v28, v43
	v_add_f32_e32 v28, v28, v42
	v_exp_f32_e32 v28, v28
	v_cvt_i32_f32_e32 v42, v43
	v_fmac_f32_e32 v23, v61, v30
	v_fmac_f32_e32 v23, v62, v25
	ds_read_b128 v[59:62], v20 offset:80
	ds_read_b128 v[55:58], v20 offset:32
	v_ldexp_f32 v28, v28, v42
	v_cmp_ngt_f32_e64 s[0:1], s24, v27
	v_cndmask_b32_e64 v28, 0, v28, s[0:1]
	v_cmp_nlt_f32_e64 s[0:1], s28, v27
	v_mul_f32_e32 v27, v53, v6
	v_mul_f32_e32 v42, 0x3fb8aa3b, v27
	s_waitcnt lgkmcnt(1)
	v_fmac_f32_e32 v23, v59, v52
	v_fma_f32 v43, v27, s7, -v42
	v_rndne_f32_e32 v59, v42
	v_fmac_f32_e32 v43, 0x32a5705f, v27
	v_sub_f32_e32 v42, v42, v59
	v_add_f32_e32 v42, v42, v43
	v_exp_f32_e32 v43, v42
	v_cvt_i32_f32_e32 v59, v59
	v_cndmask_b32_e64 v28, v54, v28, s[0:1]
	s_waitcnt lgkmcnt(0)
	v_mul_f32_e32 v42, v19, v55
	v_fmac_f32_e32 v42, v44, v28
	v_ldexp_f32 v28, v43, v59
	v_cmp_ngt_f32_e64 s[0:1], s24, v27
	v_cndmask_b32_e64 v28, 0, v28, s[0:1]
	v_cmp_nlt_f32_e64 s[0:1], s28, v27
	v_cndmask_b32_e64 v27, v54, v28, s[0:1]
	v_mul_f32_e32 v28, v53, v7
	v_mul_f32_e32 v43, 0x3fb8aa3b, v28
	v_fma_f32 v44, v28, s7, -v43
	v_rndne_f32_e32 v55, v43
	v_fmac_f32_e32 v44, 0x32a5705f, v28
	v_sub_f32_e32 v43, v43, v55
	v_add_f32_e32 v43, v43, v44
	v_exp_f32_e32 v44, v43
	v_cvt_i32_f32_e32 v55, v55
	v_mul_f32_e32 v43, v19, v56
	v_fmac_f32_e32 v43, v45, v27
	v_cmp_ngt_f32_e64 s[0:1], s24, v28
	v_ldexp_f32 v27, v44, v55
	v_cndmask_b32_e64 v27, 0, v27, s[0:1]
	v_cmp_nlt_f32_e64 s[0:1], s28, v28
	v_cndmask_b32_e64 v27, v54, v27, s[0:1]
	v_mul_f32_e32 v44, v19, v57
	v_mul_f32_e32 v28, v53, v8
	v_fmac_f32_e32 v44, v46, v27
	v_mul_f32_e32 v27, 0x3fb8aa3b, v28
	v_fma_f32 v45, v28, s7, -v27
	v_rndne_f32_e32 v46, v27
	v_fmac_f32_e32 v45, 0x32a5705f, v28
	v_sub_f32_e32 v27, v27, v46
	v_add_f32_e32 v27, v27, v45
	v_exp_f32_e32 v45, v27
	v_cvt_i32_f32_e32 v46, v46
	v_cmp_ngt_f32_e64 s[0:1], s24, v28
	v_mul_f32_e32 v27, v19, v58
	v_fmac_f32_e32 v23, v60, v50
	v_ldexp_f32 v45, v45, v46
	v_cndmask_b32_e64 v45, 0, v45, s[0:1]
	v_cmp_nlt_f32_e64 s[0:1], s28, v28
	v_cndmask_b32_e64 v28, v54, v45, s[0:1]
	v_fmac_f32_e32 v27, v32, v28
	v_mul_f32_e32 v28, v53, v1
	v_fmac_f32_e32 v23, v61, v51
	v_mul_f32_e32 v32, 0x3fb8aa3b, v28
	v_fmac_f32_e32 v23, v62, v29
	ds_read_b128 v[59:62], v20 offset:96
	ds_read_b128 v[55:58], v20 offset:48
	v_fma_f32 v45, v28, s7, -v32
	v_rndne_f32_e32 v46, v32
	v_fmac_f32_e32 v45, 0x32a5705f, v28
	v_sub_f32_e32 v32, v32, v46
	v_add_f32_e32 v32, v32, v45
	v_exp_f32_e32 v32, v32
	v_cvt_i32_f32_e32 v45, v46
	s_waitcnt lgkmcnt(1)
	v_fmac_f32_e32 v23, v59, v42
	v_fmac_f32_e32 v23, v60, v43
	v_fmac_f32_e32 v23, v61, v44
	v_ldexp_f32 v32, v32, v45
	v_cmp_ngt_f32_e64 s[0:1], s24, v28
	v_fmac_f32_e32 v23, v62, v27
	v_cndmask_b32_e64 v32, 0, v32, s[0:1]
	v_cmp_nlt_f32_e64 s[0:1], s28, v28
	ds_read_b128 v[59:62], v20 offset:112
	v_mul_f32_e32 v20, v53, v2
	v_cndmask_b32_e64 v28, v54, v32, s[0:1]
	v_mul_f32_e32 v32, 0x3fb8aa3b, v20
	v_fma_f32 v45, v20, s7, -v32
	v_rndne_f32_e32 v46, v32
	v_fmac_f32_e32 v45, 0x32a5705f, v20
	v_sub_f32_e32 v32, v32, v46
	v_add_f32_e32 v32, v32, v45
	v_exp_f32_e32 v45, v32
	v_cvt_i32_f32_e32 v46, v46
	s_waitcnt lgkmcnt(1)
	v_mul_f32_e32 v32, v19, v55
	v_fmac_f32_e32 v32, v47, v28
	v_cmp_ngt_f32_e64 s[0:1], s24, v20
	v_ldexp_f32 v28, v45, v46
	v_cndmask_b32_e64 v28, 0, v28, s[0:1]
	v_cmp_nlt_f32_e64 s[0:1], s28, v20
	v_cndmask_b32_e64 v20, v54, v28, s[0:1]
	v_mul_f32_e32 v28, v53, v3
	v_mul_f32_e32 v45, 0x3fb8aa3b, v28
	v_fma_f32 v46, v28, s7, -v45
	v_rndne_f32_e32 v47, v45
	v_fmac_f32_e32 v46, 0x32a5705f, v28
	v_sub_f32_e32 v45, v45, v47
	v_add_f32_e32 v45, v45, v46
	v_exp_f32_e32 v46, v45
	v_cvt_i32_f32_e32 v47, v47
	v_mul_f32_e32 v45, v19, v56
	v_fmac_f32_e32 v45, v48, v20
	v_cmp_ngt_f32_e64 s[0:1], s24, v28
	v_ldexp_f32 v20, v46, v47
	v_cndmask_b32_e64 v20, 0, v20, s[0:1]
	v_cmp_nlt_f32_e64 s[0:1], s28, v28
	v_mul_f32_e32 v28, v53, v4
	v_mul_f32_e32 v46, 0x3fb8aa3b, v28
	v_fma_f32 v47, v28, s7, -v46
	v_rndne_f32_e32 v48, v46
	v_fmac_f32_e32 v47, 0x32a5705f, v28
	v_sub_f32_e32 v46, v46, v48
	v_add_f32_e32 v46, v46, v47
	v_exp_f32_e32 v47, v46
	v_cvt_i32_f32_e32 v48, v48
	v_cndmask_b32_e64 v20, v54, v20, s[0:1]
	v_mul_f32_e32 v46, v19, v57
	v_fmac_f32_e32 v46, v49, v20
	v_ldexp_f32 v20, v47, v48
	v_cmp_ngt_f32_e64 s[0:1], s24, v28
	s_waitcnt lgkmcnt(0)
	v_fmac_f32_e32 v23, v59, v32
	v_cndmask_b32_e64 v20, 0, v20, s[0:1]
	v_cmp_nlt_f32_e64 s[0:1], s28, v28
	v_fmac_f32_e32 v23, v60, v45
	v_cndmask_b32_e64 v20, v54, v20, s[0:1]
	v_mul_f32_e32 v28, v19, v58
	s_ashr_i64 s[2:3], s[14:15], 29
	v_fmac_f32_e32 v23, v61, v46
	v_fmac_f32_e32 v28, v24, v20
	v_add_co_u32_e64 v19, s[0:1], s2, v35
	v_mov_b32_e32 v20, s3
	v_fmac_f32_e32 v23, v62, v28
	v_addc_co_u32_e64 v20, s[0:1], v36, v20, s[0:1]
	global_store_dword v[19:20], v23, off
	s_waitcnt vmcnt(0)
	s_barrier
	s_and_saveexec_b64 s[0:1], vcc
	s_cbranch_execz .LBB6_14
; %bb.13:
	v_mad_i64_i32 v[19:20], s[2:3], s18, 12, v[39:40]
	v_mad_i64_i32 v[23:24], s[2:3], s16, 12, v[37:38]
	global_load_dword v47, v[19:20], off
	global_load_dword v48, v[23:24], off
	s_waitcnt vmcnt(1)
	ds_write_b32 v0, v47
	s_waitcnt vmcnt(0)
	ds_write_b32 v41, v48
.LBB6_14:
	s_or_b64 exec, exec, s[0:1]
	v_mov_b32_e32 v20, s21
	v_add_co_u32_e64 v19, s[0:1], s20, v21
	v_addc_co_u32_e64 v20, s[0:1], v22, v20, s[0:1]
	s_waitcnt lgkmcnt(0)
	s_barrier
	global_load_dword v53, v[19:20], off
	s_mov_b32 s0, 0x41a00000
	s_bfe_i64 s[28:29], s[38:39], 0x200000
	s_waitcnt vmcnt(0)
	v_cmp_ge_f32_e64 s[0:1], s0, v53
	s_and_saveexec_b64 s[2:3], s[0:1]
	s_cbranch_execz .LBB6_16
; %bb.15:
	v_mul_f32_e32 v21, 0x3fb8aa3b, v53
	s_mov_b32 s0, 0x3fb8aa3b
	v_rndne_f32_e32 v22, v21
	v_sub_f32_e32 v23, v21, v22
	v_fma_f32 v21, v53, s0, -v21
	v_fmac_f32_e32 v21, 0x32a5705f, v53
	v_add_f32_e32 v21, v23, v21
	v_exp_f32_e32 v21, v21
	v_cvt_i32_f32_e32 v22, v22
	s_mov_b32 s0, 0xc2ce8ed0
	v_cmp_ngt_f32_e64 s[0:1], s0, v53
	v_mov_b32_e32 v23, 0x7f800000
	v_ldexp_f32 v21, v21, v22
	v_cndmask_b32_e64 v21, 0, v21, s[0:1]
	s_mov_b32 s0, 0x42b17218
	v_cmp_nlt_f32_e64 s[0:1], s0, v53
	v_cndmask_b32_e64 v24, v23, v21, s[0:1]
	v_add_f32_e32 v47, 1.0, v24
	v_cvt_f64_f32_e32 v[21:22], v47
	v_add_f32_e32 v48, -1.0, v47
	v_sub_f32_e32 v49, v48, v47
	v_sub_f32_e32 v48, v24, v48
	v_frexp_exp_i32_f64_e32 v21, v[21:22]
	v_add_f32_e32 v22, 1.0, v49
	v_add_f32_e32 v22, v48, v22
	v_frexp_mant_f32_e32 v48, v47
	s_mov_b32 s0, 0x3f2aaaab
	v_cmp_gt_f32_e64 s[0:1], s0, v48
	s_mov_b32 s4, 0x7f800000
	v_subbrev_co_u32_e64 v21, s[0:1], 0, v21, s[0:1]
	v_sub_u32_e32 v48, 0, v21
	v_ldexp_f32 v47, v47, v48
	v_ldexp_f32 v22, v22, v48
	v_add_f32_e32 v48, -1.0, v47
	v_add_f32_e32 v54, 1.0, v47
	v_add_f32_e32 v49, 1.0, v48
	v_add_f32_e32 v55, -1.0, v54
	v_sub_f32_e32 v49, v47, v49
	v_sub_f32_e32 v47, v47, v55
	v_add_f32_e32 v49, v22, v49
	v_add_f32_e32 v22, v22, v47
	;; [unrolled: 1-line block ×3, first 2 shown]
	v_rcp_f32_e32 v55, v47
	v_add_f32_e32 v53, v48, v49
	v_sub_f32_e32 v48, v48, v53
	v_add_f32_e32 v48, v49, v48
	v_sub_f32_e32 v49, v54, v47
	v_add_f32_e32 v22, v22, v49
	v_mul_f32_e32 v49, v53, v55
	v_mul_f32_e32 v54, v47, v49
	v_fma_f32 v56, v49, v47, -v54
	v_fmac_f32_e32 v56, v49, v22
	v_add_f32_e32 v57, v54, v56
	v_sub_f32_e32 v58, v53, v57
	v_sub_f32_e32 v53, v53, v58
	;; [unrolled: 1-line block ×4, first 2 shown]
	v_add_f32_e32 v48, v48, v53
	v_sub_f32_e32 v53, v54, v56
	v_add_f32_e32 v48, v53, v48
	v_add_f32_e32 v53, v58, v48
	v_mul_f32_e32 v54, v55, v53
	v_mul_f32_e32 v56, v47, v54
	v_fma_f32 v47, v54, v47, -v56
	v_fmac_f32_e32 v47, v54, v22
	v_sub_f32_e32 v22, v58, v53
	v_add_f32_e32 v22, v48, v22
	v_add_f32_e32 v48, v56, v47
	v_sub_f32_e32 v57, v53, v48
	v_sub_f32_e32 v53, v53, v57
	;; [unrolled: 1-line block ×4, first 2 shown]
	v_add_f32_e32 v22, v22, v48
	v_sub_f32_e32 v47, v56, v47
	v_add_f32_e32 v22, v47, v22
	v_add_f32_e32 v47, v49, v54
	;; [unrolled: 1-line block ×3, first 2 shown]
	v_sub_f32_e32 v48, v47, v49
	v_mul_f32_e32 v22, v55, v22
	v_sub_f32_e32 v48, v54, v48
	v_add_f32_e32 v22, v48, v22
	v_cvt_f32_i32_e32 v21, v21
	v_add_f32_e32 v48, v47, v22
	v_mul_f32_e32 v49, v48, v48
	v_mov_b32_e32 v53, 0x3ecc95a3
	v_fmac_f32_e32 v53, 0x3e9b6dac, v49
	v_mov_b32_e32 v54, 0x3f2aaada
	v_fmac_f32_e32 v54, v49, v53
	s_mov_b32 s0, 0x3f317218
	v_mul_f32_e32 v53, 0x3f317218, v21
	v_fma_f32 v55, v21, s0, -v53
	v_fmac_f32_e32 v55, 0xb102e308, v21
	v_sub_f32_e32 v21, v48, v47
	v_sub_f32_e32 v21, v22, v21
	v_add_f32_e32 v22, v53, v55
	v_sub_f32_e32 v47, v22, v53
	v_ldexp_f32 v53, v48, 1
	v_mul_f32_e32 v48, v48, v49
	v_mul_f32_e32 v48, v48, v54
	v_add_f32_e32 v49, v53, v48
	v_sub_f32_e32 v53, v49, v53
	v_ldexp_f32 v21, v21, 1
	v_sub_f32_e32 v48, v48, v53
	v_add_f32_e32 v21, v21, v48
	v_add_f32_e32 v48, v49, v21
	v_sub_f32_e32 v49, v48, v49
	v_sub_f32_e32 v21, v21, v49
	v_add_f32_e32 v49, v22, v48
	v_sub_f32_e32 v53, v49, v22
	v_sub_f32_e32 v54, v49, v53
	;; [unrolled: 1-line block ×5, first 2 shown]
	v_add_f32_e32 v22, v48, v22
	v_add_f32_e32 v48, v47, v21
	v_sub_f32_e32 v53, v48, v47
	v_sub_f32_e32 v54, v48, v53
	;; [unrolled: 1-line block ×4, first 2 shown]
	v_add_f32_e32 v22, v48, v22
	v_add_f32_e32 v21, v21, v47
	;; [unrolled: 1-line block ×3, first 2 shown]
	v_sub_f32_e32 v48, v47, v49
	v_sub_f32_e32 v22, v22, v48
	v_add_f32_e32 v21, v21, v22
	v_add_f32_e32 v21, v47, v21
	v_cmp_neq_f32_e64 s[0:1], s4, v24
	v_cndmask_b32_e64 v21, v23, v21, s[0:1]
	s_mov_b32 s0, 0x33800000
	v_cmp_gt_f32_e64 s[0:1], s0, v24
	v_cndmask_b32_e64 v53, v21, v24, s[0:1]
.LBB6_16:
	s_or_b64 exec, exec, s[2:3]
	v_add_co_u32_e64 v17, s[0:1], s26, v17
	v_mov_b32_e32 v21, s27
	v_addc_co_u32_e64 v18, s[0:1], v18, v21, s[0:1]
	global_load_dword v47, v[17:18], off
	v_mul_f32_e32 v48, v53, v13
	v_mul_f32_e32 v49, v53, v14
	;; [unrolled: 1-line block ×3, first 2 shown]
	s_mov_b32 s29, 0x42b17218
	v_mul_f32_e32 v56, v53, v15
	v_mul_f32_e32 v59, 0x3fb8aa3b, v49
	v_fma_f32 v61, v48, s7, -v58
	v_cmp_ngt_f32_e64 s[2:3], s24, v48
	v_cmp_nlt_f32_e64 s[4:5], s29, v48
	v_mul_f32_e32 v60, 0x3fb8aa3b, v56
	v_fmac_f32_e32 v61, 0x32a5705f, v48
	v_fma_f32 v48, v49, s7, -v59
	v_cmp_ngt_f32_e64 s[8:9], s24, v49
	v_cmp_nlt_f32_e64 s[0:1], s29, v49
	v_rndne_f32_e32 v62, v58
	v_fmac_f32_e32 v48, 0x32a5705f, v49
	v_fma_f32 v49, v56, s7, -v60
	v_cmp_ngt_f32_e64 s[12:13], s24, v56
	v_cmp_nlt_f32_e64 s[10:11], s29, v56
	v_fmac_f32_e32 v49, 0x32a5705f, v56
	v_sub_f32_e32 v56, v58, v62
	v_rndne_f32_e32 v63, v59
	v_add_f32_e32 v58, v56, v61
	v_rndne_f32_e32 v61, v60
	v_sub_f32_e32 v56, v59, v63
	v_sub_f32_e32 v59, v60, v61
	v_mov_b32_e32 v55, 0
	v_add_f32_e32 v49, v59, v49
	v_cvt_i32_f32_e32 v59, v62
	v_exp_f32_e32 v58, v58
	v_mul_f32_e32 v57, v53, v16
	ds_read_b128 v[21:24], v55
	v_add_f32_e32 v48, v56, v48
	v_cvt_i32_f32_e32 v60, v63
	v_cvt_i32_f32_e32 v61, v61
	v_exp_f32_e32 v48, v48
	v_exp_f32_e32 v49, v49
	v_ldexp_f32 v58, v58, v59
	v_cndmask_b32_e64 v58, 0, v58, s[2:3]
	v_ldexp_f32 v48, v48, v60
	v_ldexp_f32 v49, v49, v61
	ds_read_b128 v[62:65], v55 offset:64
	v_mul_f32_e32 v67, v53, v9
	v_cmp_nlt_f32_e64 s[2:3], s29, v57
	s_waitcnt vmcnt(0)
	v_mul_f32_e32 v54, v53, v47
	v_mul_f32_e32 v47, 0x3fb8aa3b, v57
	v_fma_f32 v56, v57, s7, -v47
	v_rndne_f32_e32 v66, v47
	v_fmac_f32_e32 v56, 0x32a5705f, v57
	v_sub_f32_e32 v47, v47, v66
	v_add_f32_e32 v47, v47, v56
	v_mov_b32_e32 v56, 0x7f800000
	s_waitcnt lgkmcnt(1)
	v_mul_f32_e32 v21, v54, v21
	v_cndmask_b32_e64 v58, v56, v58, s[4:5]
	v_fmac_f32_e32 v21, v31, v58
	v_cndmask_b32_e64 v31, 0, v48, s[8:9]
	v_cndmask_b32_e64 v48, 0, v49, s[12:13]
	v_mul_f32_e32 v22, v54, v22
	v_mul_f32_e32 v23, v54, v23
	v_cndmask_b32_e64 v31, v56, v31, s[0:1]
	v_cndmask_b32_e64 v48, v56, v48, s[10:11]
	v_fmac_f32_e32 v22, v26, v31
	v_fmac_f32_e32 v23, v30, v48
	v_cvt_i32_f32_e32 v26, v66
	v_exp_f32_e32 v30, v47
	v_cmp_ngt_f32_e64 s[0:1], s24, v57
	v_mul_f32_e32 v24, v54, v24
	v_mul_f32_e32 v31, 0x3fb8aa3b, v67
	v_ldexp_f32 v26, v30, v26
	v_cndmask_b32_e64 v26, 0, v26, s[0:1]
	v_cndmask_b32_e64 v26, v56, v26, s[2:3]
	v_fma_f32 v30, v67, s7, -v31
	v_fmac_f32_e32 v24, v25, v26
	v_rndne_f32_e32 v25, v31
	v_fmac_f32_e32 v30, 0x32a5705f, v67
	v_sub_f32_e32 v26, v31, v25
	v_add_f32_e32 v26, v26, v30
	v_exp_f32_e32 v26, v26
	v_cvt_i32_f32_e32 v25, v25
	ds_read_b128 v[58:61], v55 offset:16
	s_waitcnt lgkmcnt(1)
	v_fma_f32 v57, v62, v21, 0
	v_cmp_ngt_f32_e64 s[0:1], s24, v67
	v_ldexp_f32 v25, v26, v25
	v_mul_f32_e32 v26, v53, v10
	v_mul_f32_e32 v30, 0x3fb8aa3b, v26
	v_fma_f32 v31, v26, s7, -v30
	v_rndne_f32_e32 v47, v30
	v_fmac_f32_e32 v31, 0x32a5705f, v26
	v_sub_f32_e32 v30, v30, v47
	v_add_f32_e32 v30, v30, v31
	v_exp_f32_e32 v30, v30
	v_cvt_i32_f32_e32 v31, v47
	v_fmac_f32_e32 v57, v63, v22
	v_cndmask_b32_e64 v25, 0, v25, s[0:1]
	v_cmp_nlt_f32_e64 s[0:1], s29, v67
	v_fmac_f32_e32 v57, v64, v23
	v_cndmask_b32_e64 v47, v56, v25, s[0:1]
	v_ldexp_f32 v30, v30, v31
	v_cmp_ngt_f32_e64 s[0:1], s24, v26
	v_mul_f32_e32 v31, v53, v11
	v_fmac_f32_e32 v57, v65, v24
	v_cndmask_b32_e64 v30, 0, v30, s[0:1]
	v_cmp_nlt_f32_e64 s[0:1], s29, v26
	v_mul_f32_e32 v26, 0x3fb8aa3b, v31
	ds_read_b128 v[62:65], v55 offset:80
	s_waitcnt lgkmcnt(1)
	v_mul_f32_e32 v25, v54, v58
	v_fmac_f32_e32 v25, v52, v47
	v_fma_f32 v47, v31, s7, -v26
	v_rndne_f32_e32 v48, v26
	v_fmac_f32_e32 v47, 0x32a5705f, v31
	v_sub_f32_e32 v26, v26, v48
	v_add_f32_e32 v26, v26, v47
	v_exp_f32_e32 v47, v26
	v_cvt_i32_f32_e32 v48, v48
	v_cndmask_b32_e64 v30, v56, v30, s[0:1]
	v_mul_f32_e32 v26, v54, v59
	v_fmac_f32_e32 v26, v50, v30
	v_ldexp_f32 v30, v47, v48
	v_cmp_ngt_f32_e64 s[0:1], s24, v31
	v_cndmask_b32_e64 v30, 0, v30, s[0:1]
	v_cmp_nlt_f32_e64 s[0:1], s29, v31
	v_cndmask_b32_e64 v30, v56, v30, s[0:1]
	v_mul_f32_e32 v48, v54, v60
	v_fmac_f32_e32 v48, v51, v30
	v_mul_f32_e32 v30, v53, v12
	v_mul_f32_e32 v31, 0x3fb8aa3b, v30
	v_fma_f32 v47, v30, s7, -v31
	v_rndne_f32_e32 v49, v31
	v_fmac_f32_e32 v47, 0x32a5705f, v30
	v_sub_f32_e32 v31, v31, v49
	v_add_f32_e32 v31, v31, v47
	v_exp_f32_e32 v31, v31
	v_cvt_i32_f32_e32 v58, v49
	v_cmp_ngt_f32_e64 s[0:1], s24, v30
	v_mul_f32_e32 v47, v54, v61
	ds_read_b128 v[49:52], v55 offset:32
	v_ldexp_f32 v31, v31, v58
	v_cndmask_b32_e64 v31, 0, v31, s[0:1]
	v_cmp_nlt_f32_e64 s[0:1], s29, v30
	v_cndmask_b32_e64 v30, v56, v31, s[0:1]
	v_fmac_f32_e32 v47, v29, v30
	v_mul_f32_e32 v29, v53, v5
	v_mul_f32_e32 v30, 0x3fb8aa3b, v29
	v_fma_f32 v31, v29, s7, -v30
	v_rndne_f32_e32 v58, v30
	v_fmac_f32_e32 v31, 0x32a5705f, v29
	v_sub_f32_e32 v30, v30, v58
	v_add_f32_e32 v30, v30, v31
	v_exp_f32_e32 v30, v30
	v_cvt_i32_f32_e32 v31, v58
	v_cmp_ngt_f32_e64 s[0:1], s24, v29
	s_waitcnt lgkmcnt(0)
	v_mul_f32_e32 v49, v54, v49
	v_fmac_f32_e32 v57, v62, v25
	v_ldexp_f32 v30, v30, v31
	v_cndmask_b32_e64 v30, 0, v30, s[0:1]
	v_cmp_nlt_f32_e64 s[0:1], s29, v29
	v_mul_f32_e32 v29, v53, v6
	v_mul_f32_e32 v31, 0x3fb8aa3b, v29
	v_fma_f32 v58, v29, s7, -v31
	v_rndne_f32_e32 v59, v31
	v_fmac_f32_e32 v58, 0x32a5705f, v29
	v_sub_f32_e32 v31, v31, v59
	v_add_f32_e32 v31, v31, v58
	v_exp_f32_e32 v31, v31
	v_cvt_i32_f32_e32 v58, v59
	v_cndmask_b32_e64 v30, v56, v30, s[0:1]
	v_fmac_f32_e32 v49, v42, v30
	v_cmp_ngt_f32_e64 s[0:1], s24, v29
	v_ldexp_f32 v30, v31, v58
	v_cndmask_b32_e64 v30, 0, v30, s[0:1]
	v_cmp_nlt_f32_e64 s[0:1], s29, v29
	v_cndmask_b32_e64 v29, v56, v30, s[0:1]
	v_mul_f32_e32 v30, v53, v7
	v_mul_f32_e32 v31, 0x3fb8aa3b, v30
	v_fma_f32 v42, v30, s7, -v31
	v_rndne_f32_e32 v58, v31
	v_fmac_f32_e32 v42, 0x32a5705f, v30
	v_sub_f32_e32 v31, v31, v58
	v_add_f32_e32 v31, v31, v42
	v_exp_f32_e32 v42, v31
	v_cvt_i32_f32_e32 v62, v58
	v_mul_f32_e32 v31, v54, v50
	v_fmac_f32_e32 v31, v43, v29
	v_cmp_ngt_f32_e64 s[0:1], s24, v30
	v_ldexp_f32 v29, v42, v62
	v_cndmask_b32_e64 v29, 0, v29, s[0:1]
	v_cmp_nlt_f32_e64 s[0:1], s29, v30
	v_cndmask_b32_e64 v29, v56, v29, s[0:1]
	v_mul_f32_e32 v30, v54, v51
	v_mul_f32_e32 v42, v53, v8
	v_fmac_f32_e32 v30, v44, v29
	v_mul_f32_e32 v29, 0x3fb8aa3b, v42
	v_fma_f32 v43, v42, s7, -v29
	v_rndne_f32_e32 v44, v29
	v_fmac_f32_e32 v43, 0x32a5705f, v42
	v_sub_f32_e32 v29, v29, v44
	v_add_f32_e32 v29, v29, v43
	v_exp_f32_e32 v43, v29
	v_cvt_i32_f32_e32 v44, v44
	v_cmp_ngt_f32_e64 s[0:1], s24, v42
	v_mul_f32_e32 v29, v54, v52
	v_fmac_f32_e32 v57, v63, v26
	v_ldexp_f32 v43, v43, v44
	v_cndmask_b32_e64 v43, 0, v43, s[0:1]
	v_cmp_nlt_f32_e64 s[0:1], s29, v42
	v_cndmask_b32_e64 v42, v56, v43, s[0:1]
	v_fmac_f32_e32 v29, v27, v42
	v_mul_f32_e32 v27, v53, v1
	v_mul_f32_e32 v42, 0x3fb8aa3b, v27
	v_fma_f32 v43, v27, s7, -v42
	v_rndne_f32_e32 v44, v42
	v_fmac_f32_e32 v43, 0x32a5705f, v27
	v_sub_f32_e32 v42, v42, v44
	v_add_f32_e32 v42, v42, v43
	v_exp_f32_e32 v42, v42
	v_cvt_i32_f32_e32 v43, v44
	v_cmp_ngt_f32_e64 s[0:1], s24, v27
	v_fmac_f32_e32 v57, v64, v48
	v_fmac_f32_e32 v57, v65, v47
	v_ldexp_f32 v42, v42, v43
	v_mul_f32_e32 v43, v53, v2
	v_cndmask_b32_e64 v42, 0, v42, s[0:1]
	v_cmp_nlt_f32_e64 s[0:1], s29, v27
	v_mul_f32_e32 v27, 0x3fb8aa3b, v43
	v_fma_f32 v44, v43, s7, -v27
	v_rndne_f32_e32 v50, v27
	ds_read_b128 v[58:61], v55 offset:96
	ds_read_b128 v[62:65], v55 offset:48
	v_fmac_f32_e32 v44, 0x32a5705f, v43
	v_sub_f32_e32 v27, v27, v50
	v_add_f32_e32 v27, v27, v44
	v_exp_f32_e32 v44, v27
	v_cvt_i32_f32_e32 v50, v50
	v_cndmask_b32_e64 v42, v56, v42, s[0:1]
	s_waitcnt lgkmcnt(0)
	v_mul_f32_e32 v27, v54, v62
	v_fmac_f32_e32 v27, v32, v42
	v_ldexp_f32 v32, v44, v50
	v_cmp_ngt_f32_e64 s[0:1], s24, v43
	v_cndmask_b32_e64 v32, 0, v32, s[0:1]
	v_cmp_nlt_f32_e64 s[0:1], s29, v43
	v_mul_f32_e32 v43, v53, v3
	v_cndmask_b32_e64 v42, v56, v32, s[0:1]
	v_mul_f32_e32 v32, 0x3fb8aa3b, v43
	v_fma_f32 v44, v43, s7, -v32
	v_rndne_f32_e32 v50, v32
	v_fmac_f32_e32 v44, 0x32a5705f, v43
	v_sub_f32_e32 v32, v32, v50
	v_add_f32_e32 v32, v32, v44
	v_exp_f32_e32 v44, v32
	v_cvt_i32_f32_e32 v50, v50
	v_mul_f32_e32 v32, v54, v63
	v_fmac_f32_e32 v32, v45, v42
	v_cmp_ngt_f32_e64 s[0:1], s24, v43
	v_ldexp_f32 v42, v44, v50
	v_cndmask_b32_e64 v42, 0, v42, s[0:1]
	v_cmp_nlt_f32_e64 s[0:1], s29, v43
	v_mul_f32_e32 v44, v53, v4
	v_cndmask_b32_e64 v43, v56, v42, s[0:1]
	v_mul_f32_e32 v42, 0x3fb8aa3b, v44
	v_fma_f32 v45, v44, s7, -v42
	v_rndne_f32_e32 v50, v42
	v_fmac_f32_e32 v57, v58, v49
	v_fmac_f32_e32 v45, 0x32a5705f, v44
	v_sub_f32_e32 v42, v42, v50
	v_fmac_f32_e32 v57, v59, v31
	v_add_f32_e32 v42, v42, v45
	v_fmac_f32_e32 v57, v60, v30
	v_exp_f32_e32 v45, v42
	v_cvt_i32_f32_e32 v50, v50
	v_fmac_f32_e32 v57, v61, v29
	ds_read_b128 v[58:61], v55 offset:112
	v_mul_f32_e32 v42, v54, v64
	v_fmac_f32_e32 v42, v46, v43
	v_ldexp_f32 v43, v45, v50
	v_cmp_ngt_f32_e64 s[0:1], s24, v44
	v_cndmask_b32_e64 v43, 0, v43, s[0:1]
	v_cmp_nlt_f32_e64 s[0:1], s29, v44
	s_waitcnt lgkmcnt(0)
	v_fmac_f32_e32 v57, v58, v27
	v_cndmask_b32_e64 v46, v56, v43, s[0:1]
	v_mad_i64_i32 v[44:45], s[0:1], s28, 12, v[35:36]
	v_fmac_f32_e32 v57, v59, v32
	v_mul_f32_e32 v43, v54, v65
	v_fmac_f32_e32 v57, v60, v42
	v_fmac_f32_e32 v43, v28, v46
	v_fmac_f32_e32 v57, v61, v43
	global_store_dword v[44:45], v57, off
	s_waitcnt vmcnt(0)
	s_barrier
	s_and_saveexec_b64 s[0:1], vcc
	s_cbranch_execz .LBB6_18
; %bb.17:
	s_lshl_b64 s[2:3], s[18:19], 4
	v_mov_b32_e32 v28, s3
	v_add_co_u32_e32 v39, vcc, s2, v39
	v_addc_co_u32_e32 v40, vcc, v40, v28, vcc
	s_lshl_b64 s[2:3], s[16:17], 4
	global_load_dword v28, v[39:40], off
	v_mov_b32_e32 v39, s3
	v_add_co_u32_e32 v37, vcc, s2, v37
	v_addc_co_u32_e32 v38, vcc, v38, v39, vcc
	global_load_dword v37, v[37:38], off
	s_waitcnt vmcnt(1)
	ds_write_b32 v0, v28
	s_waitcnt vmcnt(0)
	ds_write_b32 v41, v37
.LBB6_18:
	s_or_b64 exec, exec, s[0:1]
	v_mov_b32_e32 v0, s21
	v_add_co_u32_e32 v19, vcc, s20, v19
	v_addc_co_u32_e32 v20, vcc, v20, v0, vcc
	s_waitcnt lgkmcnt(0)
	s_barrier
	global_load_dword v0, v[19:20], off
	s_mov_b32 s0, 0x41a00000
	s_waitcnt vmcnt(0)
	v_cmp_ge_f32_e32 vcc, s0, v0
	s_and_saveexec_b64 s[0:1], vcc
	s_cbranch_execz .LBB6_20
; %bb.19:
	v_mul_f32_e32 v19, 0x3fb8aa3b, v0
	s_mov_b32 s2, 0x3fb8aa3b
	v_rndne_f32_e32 v20, v19
	v_sub_f32_e32 v28, v19, v20
	v_fma_f32 v19, v0, s2, -v19
	v_fmac_f32_e32 v19, 0x32a5705f, v0
	v_add_f32_e32 v19, v28, v19
	v_exp_f32_e32 v19, v19
	v_cvt_i32_f32_e32 v20, v20
	s_mov_b32 s2, 0xc2ce8ed0
	v_cmp_ngt_f32_e32 vcc, s2, v0
	s_mov_b32 s2, 0x42b17218
	v_ldexp_f32 v19, v19, v20
	v_cndmask_b32_e32 v19, 0, v19, vcc
	v_mov_b32_e32 v28, 0x7f800000
	v_cmp_nlt_f32_e32 vcc, s2, v0
	v_cndmask_b32_e32 v0, v28, v19, vcc
	v_add_f32_e32 v37, 1.0, v0
	v_cvt_f64_f32_e32 v[19:20], v37
	v_add_f32_e32 v38, -1.0, v37
	v_sub_f32_e32 v39, v38, v37
	v_sub_f32_e32 v38, v0, v38
	v_frexp_exp_i32_f64_e32 v19, v[19:20]
	v_add_f32_e32 v20, 1.0, v39
	v_add_f32_e32 v20, v38, v20
	v_frexp_mant_f32_e32 v38, v37
	s_mov_b32 s3, 0x3f2aaaab
	v_cmp_gt_f32_e32 vcc, s3, v38
	s_mov_b32 s3, 0x3f317218
	s_mov_b32 s2, 0x7f800000
	v_subbrev_co_u32_e32 v19, vcc, 0, v19, vcc
	v_sub_u32_e32 v38, 0, v19
	v_ldexp_f32 v37, v37, v38
	v_ldexp_f32 v20, v20, v38
	v_add_f32_e32 v38, -1.0, v37
	v_add_f32_e32 v41, 1.0, v37
	v_add_f32_e32 v39, 1.0, v38
	v_add_f32_e32 v44, -1.0, v41
	v_sub_f32_e32 v39, v37, v39
	v_sub_f32_e32 v37, v37, v44
	v_add_f32_e32 v39, v20, v39
	v_add_f32_e32 v20, v20, v37
	v_add_f32_e32 v37, v41, v20
	v_rcp_f32_e32 v44, v37
	v_add_f32_e32 v40, v38, v39
	v_sub_f32_e32 v38, v38, v40
	v_add_f32_e32 v38, v39, v38
	v_sub_f32_e32 v39, v41, v37
	v_add_f32_e32 v20, v20, v39
	v_mul_f32_e32 v39, v40, v44
	v_mul_f32_e32 v41, v37, v39
	v_fma_f32 v45, v39, v37, -v41
	v_fmac_f32_e32 v45, v39, v20
	v_add_f32_e32 v46, v41, v45
	v_sub_f32_e32 v50, v40, v46
	v_sub_f32_e32 v40, v40, v50
	;; [unrolled: 1-line block ×4, first 2 shown]
	v_add_f32_e32 v38, v38, v40
	v_sub_f32_e32 v40, v41, v45
	v_add_f32_e32 v38, v40, v38
	v_add_f32_e32 v40, v50, v38
	v_mul_f32_e32 v41, v44, v40
	v_mul_f32_e32 v45, v37, v41
	v_fma_f32 v37, v41, v37, -v45
	v_fmac_f32_e32 v37, v41, v20
	v_sub_f32_e32 v20, v50, v40
	v_add_f32_e32 v20, v38, v20
	v_add_f32_e32 v38, v45, v37
	v_sub_f32_e32 v46, v40, v38
	v_sub_f32_e32 v40, v40, v46
	;; [unrolled: 1-line block ×4, first 2 shown]
	v_add_f32_e32 v20, v20, v38
	v_sub_f32_e32 v37, v45, v37
	v_add_f32_e32 v20, v37, v20
	v_add_f32_e32 v37, v39, v41
	;; [unrolled: 1-line block ×3, first 2 shown]
	v_sub_f32_e32 v38, v37, v39
	v_mul_f32_e32 v20, v44, v20
	v_sub_f32_e32 v38, v41, v38
	v_add_f32_e32 v20, v38, v20
	v_cvt_f32_i32_e32 v19, v19
	v_add_f32_e32 v38, v37, v20
	v_mul_f32_e32 v39, v38, v38
	v_mov_b32_e32 v40, 0x3ecc95a3
	v_fmac_f32_e32 v40, 0x3e9b6dac, v39
	v_mov_b32_e32 v41, 0x3f2aaada
	v_fmac_f32_e32 v41, v39, v40
	v_mul_f32_e32 v40, 0x3f317218, v19
	v_fma_f32 v44, v19, s3, -v40
	v_fmac_f32_e32 v44, 0xb102e308, v19
	v_sub_f32_e32 v19, v38, v37
	v_sub_f32_e32 v19, v20, v19
	v_add_f32_e32 v20, v40, v44
	v_sub_f32_e32 v37, v20, v40
	v_ldexp_f32 v40, v38, 1
	v_mul_f32_e32 v38, v38, v39
	v_mul_f32_e32 v38, v38, v41
	v_add_f32_e32 v39, v40, v38
	v_sub_f32_e32 v40, v39, v40
	v_ldexp_f32 v19, v19, 1
	v_sub_f32_e32 v38, v38, v40
	v_add_f32_e32 v19, v19, v38
	v_add_f32_e32 v38, v39, v19
	v_sub_f32_e32 v39, v38, v39
	v_sub_f32_e32 v19, v19, v39
	v_add_f32_e32 v39, v20, v38
	v_sub_f32_e32 v40, v39, v20
	v_sub_f32_e32 v41, v39, v40
	;; [unrolled: 1-line block ×5, first 2 shown]
	v_add_f32_e32 v20, v38, v20
	v_add_f32_e32 v38, v37, v19
	v_sub_f32_e32 v40, v38, v37
	v_sub_f32_e32 v41, v38, v40
	;; [unrolled: 1-line block ×4, first 2 shown]
	v_add_f32_e32 v20, v38, v20
	v_add_f32_e32 v19, v19, v37
	;; [unrolled: 1-line block ×3, first 2 shown]
	v_sub_f32_e32 v38, v37, v39
	v_sub_f32_e32 v20, v20, v38
	v_add_f32_e32 v19, v19, v20
	v_add_f32_e32 v19, v37, v19
	v_cmp_neq_f32_e32 vcc, s2, v0
	s_mov_b32 s2, 0x33800000
	v_cndmask_b32_e32 v19, v28, v19, vcc
	v_cmp_gt_f32_e32 vcc, s2, v0
	v_cndmask_b32_e32 v0, v19, v0, vcc
.LBB6_20:
	s_or_b64 exec, exec, s[0:1]
	v_mov_b32_e32 v19, s27
	v_add_co_u32_e32 v17, vcc, s26, v17
	v_addc_co_u32_e32 v18, vcc, v18, v19, vcc
	global_load_dword v18, v[17:18], off
	v_mul_f32_e32 v19, v0, v13
	v_mul_f32_e32 v14, v0, v14
	s_mov_b32 s5, 0x3fb8aa3b
	v_mul_f32_e32 v15, v0, v15
	v_mul_f32_e32 v20, 0x3fb8aa3b, v19
	;; [unrolled: 1-line block ×5, first 2 shown]
	v_fma_f32 v46, v19, s5, -v20
	v_rndne_f32_e32 v54, v20
	v_fma_f32 v55, v14, s5, -v28
	v_rndne_f32_e32 v56, v28
	v_mul_f32_e32 v44, 0x3fb8aa3b, v16
	v_fma_f32 v57, v15, s5, -v41
	v_rndne_f32_e32 v58, v41
	v_fmac_f32_e32 v46, 0x32a5705f, v19
	v_sub_f32_e32 v20, v20, v54
	v_fmac_f32_e32 v55, 0x32a5705f, v14
	v_sub_f32_e32 v28, v28, v56
	v_add_f32_e32 v20, v20, v46
	v_fma_f32 v46, v16, s5, -v44
	v_add_f32_e32 v28, v28, v55
	v_rndne_f32_e32 v55, v44
	v_fmac_f32_e32 v57, 0x32a5705f, v15
	v_sub_f32_e32 v41, v41, v58
	v_cvt_i32_f32_e32 v54, v54
	v_fmac_f32_e32 v46, 0x32a5705f, v16
	v_sub_f32_e32 v44, v44, v55
	v_add_f32_e32 v41, v41, v57
	v_exp_f32_e32 v20, v20
	v_cvt_i32_f32_e32 v56, v56
	v_cvt_i32_f32_e32 v58, v58
	v_add_f32_e32 v44, v44, v46
	v_exp_f32_e32 v28, v28
	v_exp_f32_e32 v41, v41
	v_cvt_i32_f32_e32 v55, v55
	v_exp_f32_e32 v44, v44
	s_mov_b32 s4, 0xc2ce8ed0
	v_mov_b32_e32 v17, 0
	s_mul_i32 s8, s25, s6
	s_mov_b32 s6, 0x42b17218
	ds_read_b128 v[37:40], v17
	ds_read_b128 v[50:53], v17 offset:16
	v_ldexp_f32 v20, v20, v54
	v_cmp_ngt_f32_e32 vcc, s4, v19
	v_mov_b32_e32 v13, 0x7f800000
	v_ldexp_f32 v28, v28, v56
	v_ldexp_f32 v41, v41, v58
	v_cndmask_b32_e32 v20, 0, v20, vcc
	v_cmp_nlt_f32_e32 vcc, s6, v19
	v_cmp_ngt_f32_e64 s[0:1], s4, v14
	v_cmp_ngt_f32_e64 s[2:3], s4, v15
	v_ldexp_f32 v44, v44, v55
	v_cndmask_b32_e64 v19, 0, v28, s[0:1]
	v_cmp_nlt_f32_e64 s[0:1], s6, v14
	v_cndmask_b32_e64 v14, 0, v41, s[2:3]
	v_cmp_ngt_f32_e64 s[2:3], s4, v16
	v_cndmask_b32_e32 v20, v13, v20, vcc
	v_cmp_nlt_f32_e32 vcc, s6, v15
	v_mul_f32_e32 v9, v0, v9
	v_cndmask_b32_e32 v14, v13, v14, vcc
	v_cmp_nlt_f32_e32 vcc, s6, v16
	v_mul_f32_e32 v45, 0x3fb8aa3b, v9
	v_mul_f32_e32 v10, v0, v10
	;; [unrolled: 1-line block ×5, first 2 shown]
	v_cndmask_b32_e64 v19, v13, v19, s[0:1]
	ds_read_b128 v[54:57], v17 offset:64
	ds_read_b128 v[58:61], v17 offset:80
	v_mul_f32_e32 v7, v0, v7
	v_mul_f32_e32 v8, v0, v8
	;; [unrolled: 1-line block ×5, first 2 shown]
	s_add_u32 s7, s22, s36
	s_addc_u32 s9, s23, s37
	s_add_u32 s0, s7, s8
	s_addc_u32 s1, s9, 0
	s_waitcnt vmcnt(0)
	v_mul_f32_e32 v28, v0, v18
	v_cndmask_b32_e64 v18, 0, v44, s[2:3]
	s_waitcnt lgkmcnt(3)
	v_mul_f32_e32 v39, v28, v39
	v_mul_f32_e32 v40, v28, v40
	v_cndmask_b32_e32 v15, v13, v18, vcc
	v_fmac_f32_e32 v39, v23, v14
	v_fmac_f32_e32 v40, v24, v15
	v_fma_f32 v14, v9, s5, -v45
	v_rndne_f32_e32 v15, v45
	v_fmac_f32_e32 v14, 0x32a5705f, v9
	v_sub_f32_e32 v16, v45, v15
	v_add_f32_e32 v14, v16, v14
	v_exp_f32_e32 v14, v14
	v_cvt_i32_f32_e32 v15, v15
	v_cmp_ngt_f32_e32 vcc, s4, v9
	v_mul_f32_e32 v37, v28, v37
	v_mul_f32_e32 v38, v28, v38
	v_ldexp_f32 v14, v14, v15
	v_mul_f32_e32 v15, 0x3fb8aa3b, v10
	v_fma_f32 v16, v10, s5, -v15
	v_rndne_f32_e32 v18, v15
	v_fmac_f32_e32 v16, 0x32a5705f, v10
	v_sub_f32_e32 v15, v15, v18
	v_add_f32_e32 v15, v15, v16
	v_exp_f32_e32 v15, v15
	v_cvt_i32_f32_e32 v16, v18
	v_cndmask_b32_e32 v14, 0, v14, vcc
	v_cmp_nlt_f32_e32 vcc, s6, v9
	v_cndmask_b32_e32 v14, v13, v14, vcc
	s_waitcnt lgkmcnt(2)
	v_mul_f32_e32 v9, v28, v50
	v_fmac_f32_e32 v9, v25, v14
	v_ldexp_f32 v14, v15, v16
	v_mul_f32_e32 v15, 0x3fb8aa3b, v11
	v_fma_f32 v16, v11, s5, -v15
	v_rndne_f32_e32 v18, v15
	v_fmac_f32_e32 v16, 0x32a5705f, v11
	v_sub_f32_e32 v15, v15, v18
	v_add_f32_e32 v15, v15, v16
	v_exp_f32_e32 v15, v15
	v_cvt_i32_f32_e32 v16, v18
	v_cmp_ngt_f32_e32 vcc, s4, v10
	v_cndmask_b32_e32 v14, 0, v14, vcc
	v_cmp_nlt_f32_e32 vcc, s6, v10
	v_cndmask_b32_e32 v14, v13, v14, vcc
	v_mul_f32_e32 v10, v28, v51
	v_fmac_f32_e32 v10, v26, v14
	v_ldexp_f32 v14, v15, v16
	v_cmp_ngt_f32_e32 vcc, s4, v11
	v_mul_f32_e32 v15, v0, v12
	v_cndmask_b32_e32 v14, 0, v14, vcc
	v_cmp_nlt_f32_e32 vcc, s6, v11
	v_mul_f32_e32 v11, 0x3fb8aa3b, v15
	v_fma_f32 v12, v15, s5, -v11
	v_rndne_f32_e32 v16, v11
	v_fmac_f32_e32 v12, 0x32a5705f, v15
	v_sub_f32_e32 v11, v11, v16
	v_cndmask_b32_e32 v14, v13, v14, vcc
	v_add_f32_e32 v12, v11, v12
	v_mul_f32_e32 v11, v28, v52
	v_fmac_f32_e32 v11, v48, v14
	v_cvt_i32_f32_e32 v14, v16
	v_mul_f32_e32 v16, 0x3fb8aa3b, v5
	v_exp_f32_e32 v12, v12
	v_fma_f32 v26, v5, s5, -v16
	v_rndne_f32_e32 v44, v16
	v_fmac_f32_e32 v26, 0x32a5705f, v5
	v_sub_f32_e32 v16, v16, v44
	v_add_f32_e32 v16, v16, v26
	v_exp_f32_e32 v16, v16
	v_cvt_i32_f32_e32 v26, v44
	v_ldexp_f32 v12, v12, v14
	v_cmp_ngt_f32_e32 vcc, s4, v15
	v_cndmask_b32_e32 v14, 0, v12, vcc
	v_cmp_nlt_f32_e32 vcc, s6, v15
	v_mul_f32_e32 v12, v28, v53
	v_cndmask_b32_e32 v14, v13, v14, vcc
	v_fmac_f32_e32 v12, v47, v14
	v_ldexp_f32 v14, v16, v26
	v_cmp_ngt_f32_e32 vcc, s4, v5
	v_cndmask_b32_e32 v14, 0, v14, vcc
	v_cmp_nlt_f32_e32 vcc, s6, v5
	v_mul_f32_e32 v5, 0x3fb8aa3b, v6
	v_fma_f32 v15, v6, s5, -v5
	v_rndne_f32_e32 v16, v5
	v_fmac_f32_e32 v15, 0x32a5705f, v6
	v_sub_f32_e32 v5, v5, v16
	v_fmac_f32_e32 v37, v21, v20
	v_fmac_f32_e32 v38, v22, v19
	ds_read_b128 v[18:21], v17 offset:32
	ds_read_b128 v[22:25], v17 offset:48
	v_add_f32_e32 v5, v5, v15
	v_exp_f32_e32 v15, v5
	v_cvt_i32_f32_e32 v16, v16
	v_cndmask_b32_e32 v14, v13, v14, vcc
	s_waitcnt lgkmcnt(1)
	v_mul_f32_e32 v5, v28, v18
	v_fmac_f32_e32 v5, v49, v14
	v_ldexp_f32 v14, v15, v16
	v_cmp_ngt_f32_e32 vcc, s4, v6
	v_cndmask_b32_e32 v14, 0, v14, vcc
	v_cmp_nlt_f32_e32 vcc, s6, v6
	v_mul_f32_e32 v6, 0x3fb8aa3b, v7
	v_fma_f32 v15, v7, s5, -v6
	v_rndne_f32_e32 v16, v6
	v_fmac_f32_e32 v15, 0x32a5705f, v7
	v_sub_f32_e32 v6, v6, v16
	v_add_f32_e32 v6, v6, v15
	v_exp_f32_e32 v18, v6
	v_cvt_i32_f32_e32 v26, v16
	v_cndmask_b32_e32 v14, v13, v14, vcc
	v_cmp_ngt_f32_e32 vcc, s4, v7
	v_mul_f32_e32 v6, v28, v19
	v_ldexp_f32 v18, v18, v26
	v_cndmask_b32_e32 v18, 0, v18, vcc
	v_cmp_nlt_f32_e32 vcc, s6, v7
	v_mul_f32_e32 v7, 0x3fb8aa3b, v8
	v_fma_f32 v19, v8, s5, -v7
	v_rndne_f32_e32 v26, v7
	v_fmac_f32_e32 v19, 0x32a5705f, v8
	v_sub_f32_e32 v7, v7, v26
	v_add_f32_e32 v7, v7, v19
	v_exp_f32_e32 v19, v7
	v_cvt_i32_f32_e32 v26, v26
	v_cndmask_b32_e32 v18, v13, v18, vcc
	v_mul_f32_e32 v7, v28, v20
	v_fmac_f32_e32 v7, v30, v18
	v_ldexp_f32 v18, v19, v26
	v_cmp_ngt_f32_e32 vcc, s4, v8
	v_cndmask_b32_e32 v18, 0, v18, vcc
	v_cmp_nlt_f32_e32 vcc, s6, v8
	v_mul_f32_e32 v8, 0x3fb8aa3b, v1
	v_fma_f32 v19, v1, s5, -v8
	v_rndne_f32_e32 v20, v8
	v_fmac_f32_e32 v19, 0x32a5705f, v1
	v_sub_f32_e32 v8, v8, v20
	v_add_f32_e32 v8, v8, v19
	v_exp_f32_e32 v19, v8
	v_cvt_i32_f32_e32 v20, v20
	v_fma_f32 v41, v54, v37, 0
	v_fmac_f32_e32 v41, v55, v38
	v_fmac_f32_e32 v41, v56, v39
	v_cndmask_b32_e32 v18, v13, v18, vcc
	v_mul_f32_e32 v8, v28, v21
	v_fmac_f32_e32 v41, v57, v40
	ds_read_b128 v[44:47], v17 offset:96
	v_fmac_f32_e32 v8, v29, v18
	v_ldexp_f32 v18, v19, v20
	v_cmp_ngt_f32_e32 vcc, s4, v1
	v_fmac_f32_e32 v41, v58, v9
	v_cndmask_b32_e32 v18, 0, v18, vcc
	v_cmp_nlt_f32_e32 vcc, s6, v1
	v_mul_f32_e32 v1, 0x3fb8aa3b, v2
	v_fmac_f32_e32 v41, v59, v10
	v_fma_f32 v19, v2, s5, -v1
	v_rndne_f32_e32 v20, v1
	v_fmac_f32_e32 v41, v60, v11
	v_fmac_f32_e32 v19, 0x32a5705f, v2
	v_sub_f32_e32 v1, v1, v20
	v_fmac_f32_e32 v41, v61, v12
	v_fmac_f32_e32 v6, v31, v14
	ds_read_b128 v[14:17], v17 offset:112
	v_add_f32_e32 v1, v1, v19
	s_waitcnt lgkmcnt(1)
	v_fmac_f32_e32 v41, v44, v5
	v_exp_f32_e32 v19, v1
	v_cvt_i32_f32_e32 v20, v20
	v_fmac_f32_e32 v41, v45, v6
	v_fmac_f32_e32 v41, v46, v7
	v_cndmask_b32_e32 v18, v13, v18, vcc
	v_mul_f32_e32 v1, v28, v22
	v_fmac_f32_e32 v41, v47, v8
	v_fmac_f32_e32 v1, v27, v18
	s_waitcnt lgkmcnt(0)
	v_fmac_f32_e32 v41, v14, v1
	v_ldexp_f32 v14, v19, v20
	v_cmp_ngt_f32_e32 vcc, s4, v2
	v_cndmask_b32_e32 v14, 0, v14, vcc
	v_cmp_nlt_f32_e32 vcc, s6, v2
	v_mul_f32_e32 v2, 0x3fb8aa3b, v3
	v_fma_f32 v18, v3, s5, -v2
	v_rndne_f32_e32 v19, v2
	v_fmac_f32_e32 v18, 0x32a5705f, v3
	v_sub_f32_e32 v2, v2, v19
	v_add_f32_e32 v2, v2, v18
	v_exp_f32_e32 v18, v2
	v_cvt_i32_f32_e32 v19, v19
	v_cndmask_b32_e32 v14, v13, v14, vcc
	v_mul_f32_e32 v2, v28, v23
	v_fmac_f32_e32 v2, v32, v14
	v_ldexp_f32 v14, v18, v19
	v_cmp_ngt_f32_e32 vcc, s4, v3
	v_mul_f32_e32 v0, v0, v4
	v_cndmask_b32_e32 v14, 0, v14, vcc
	v_cmp_nlt_f32_e32 vcc, s6, v3
	v_mul_f32_e32 v3, 0x3fb8aa3b, v0
	v_fmac_f32_e32 v41, v15, v2
	v_fma_f32 v4, v0, s5, -v3
	v_rndne_f32_e32 v15, v3
	v_fmac_f32_e32 v4, 0x32a5705f, v0
	v_sub_f32_e32 v3, v3, v15
	v_add_f32_e32 v3, v3, v4
	v_exp_f32_e32 v4, v3
	v_cvt_i32_f32_e32 v15, v15
	v_cndmask_b32_e32 v14, v13, v14, vcc
	v_cmp_ngt_f32_e32 vcc, s4, v0
	v_mul_f32_e32 v3, v28, v24
	v_ldexp_f32 v4, v4, v15
	v_cndmask_b32_e32 v4, 0, v4, vcc
	v_cmp_nlt_f32_e32 vcc, s6, v0
	v_fmac_f32_e32 v3, v42, v14
	v_cndmask_b32_e32 v0, v13, v4, vcc
	v_mul_f32_e32 v4, v28, v25
	s_ashr_i64 s[2:3], s[14:15], 28
	v_fmac_f32_e32 v41, v16, v3
	v_fmac_f32_e32 v4, v43, v0
	v_mov_b32_e32 v0, s3
	v_add_co_u32_e32 v13, vcc, s2, v35
	s_add_u32 s0, s0, s34
	v_fmac_f32_e32 v41, v17, v4
	v_addc_co_u32_e32 v14, vcc, v36, v0, vcc
	s_addc_u32 s1, s1, s33
	global_store_dword v[13:14], v41, off
	v_mov_b32_e32 v0, s1
	v_add_co_u32_e32 v13, vcc, s0, v33
	v_addc_co_u32_e32 v14, vcc, v0, v34, vcc
	s_waitcnt vmcnt(0)
	s_barrier
	global_store_dwordx4 v[13:14], v[37:40], off
	global_store_dwordx4 v[13:14], v[9:12], off offset:16
	global_store_dwordx4 v[13:14], v[5:8], off offset:32
	;; [unrolled: 1-line block ×3, first 2 shown]
	s_endpgm
	.section	.rodata,"a",@progbits
	.p2align	6, 0x0
	.amdhsa_kernel _Z12ssm_scan_f32ILm128ELm16ELm5EEvPKfS1_S1_S1_S1_S1_PKiPfiiiiiiiiiiilll
		.amdhsa_group_segment_fixed_size 128
		.amdhsa_private_segment_fixed_size 0
		.amdhsa_kernarg_size 136
		.amdhsa_user_sgpr_count 6
		.amdhsa_user_sgpr_private_segment_buffer 1
		.amdhsa_user_sgpr_dispatch_ptr 0
		.amdhsa_user_sgpr_queue_ptr 0
		.amdhsa_user_sgpr_kernarg_segment_ptr 1
		.amdhsa_user_sgpr_dispatch_id 0
		.amdhsa_user_sgpr_flat_scratch_init 0
		.amdhsa_user_sgpr_private_segment_size 0
		.amdhsa_uses_dynamic_stack 0
		.amdhsa_system_sgpr_private_segment_wavefront_offset 0
		.amdhsa_system_sgpr_workgroup_id_x 1
		.amdhsa_system_sgpr_workgroup_id_y 1
		.amdhsa_system_sgpr_workgroup_id_z 0
		.amdhsa_system_sgpr_workgroup_info 0
		.amdhsa_system_vgpr_workitem_id 0
		.amdhsa_next_free_vgpr 68
		.amdhsa_next_free_sgpr 44
		.amdhsa_reserve_vcc 1
		.amdhsa_reserve_flat_scratch 0
		.amdhsa_float_round_mode_32 0
		.amdhsa_float_round_mode_16_64 0
		.amdhsa_float_denorm_mode_32 3
		.amdhsa_float_denorm_mode_16_64 3
		.amdhsa_dx10_clamp 1
		.amdhsa_ieee_mode 1
		.amdhsa_fp16_overflow 0
		.amdhsa_exception_fp_ieee_invalid_op 0
		.amdhsa_exception_fp_denorm_src 0
		.amdhsa_exception_fp_ieee_div_zero 0
		.amdhsa_exception_fp_ieee_overflow 0
		.amdhsa_exception_fp_ieee_underflow 0
		.amdhsa_exception_fp_ieee_inexact 0
		.amdhsa_exception_int_div_zero 0
	.end_amdhsa_kernel
	.section	.text._Z12ssm_scan_f32ILm128ELm16ELm5EEvPKfS1_S1_S1_S1_S1_PKiPfiiiiiiiiiiilll,"axG",@progbits,_Z12ssm_scan_f32ILm128ELm16ELm5EEvPKfS1_S1_S1_S1_S1_PKiPfiiiiiiiiiiilll,comdat
.Lfunc_end6:
	.size	_Z12ssm_scan_f32ILm128ELm16ELm5EEvPKfS1_S1_S1_S1_S1_PKiPfiiiiiiiiiiilll, .Lfunc_end6-_Z12ssm_scan_f32ILm128ELm16ELm5EEvPKfS1_S1_S1_S1_S1_PKiPfiiiiiiiiiiilll
                                        ; -- End function
	.set _Z12ssm_scan_f32ILm128ELm16ELm5EEvPKfS1_S1_S1_S1_S1_PKiPfiiiiiiiiiiilll.num_vgpr, 68
	.set _Z12ssm_scan_f32ILm128ELm16ELm5EEvPKfS1_S1_S1_S1_S1_PKiPfiiiiiiiiiiilll.num_agpr, 0
	.set _Z12ssm_scan_f32ILm128ELm16ELm5EEvPKfS1_S1_S1_S1_S1_PKiPfiiiiiiiiiiilll.numbered_sgpr, 44
	.set _Z12ssm_scan_f32ILm128ELm16ELm5EEvPKfS1_S1_S1_S1_S1_PKiPfiiiiiiiiiiilll.num_named_barrier, 0
	.set _Z12ssm_scan_f32ILm128ELm16ELm5EEvPKfS1_S1_S1_S1_S1_PKiPfiiiiiiiiiiilll.private_seg_size, 0
	.set _Z12ssm_scan_f32ILm128ELm16ELm5EEvPKfS1_S1_S1_S1_S1_PKiPfiiiiiiiiiiilll.uses_vcc, 1
	.set _Z12ssm_scan_f32ILm128ELm16ELm5EEvPKfS1_S1_S1_S1_S1_PKiPfiiiiiiiiiiilll.uses_flat_scratch, 0
	.set _Z12ssm_scan_f32ILm128ELm16ELm5EEvPKfS1_S1_S1_S1_S1_PKiPfiiiiiiiiiiilll.has_dyn_sized_stack, 0
	.set _Z12ssm_scan_f32ILm128ELm16ELm5EEvPKfS1_S1_S1_S1_S1_PKiPfiiiiiiiiiiilll.has_recursion, 0
	.set _Z12ssm_scan_f32ILm128ELm16ELm5EEvPKfS1_S1_S1_S1_S1_PKiPfiiiiiiiiiiilll.has_indirect_call, 0
	.section	.AMDGPU.csdata,"",@progbits
; Kernel info:
; codeLenInByte = 13324
; TotalNumSgprs: 48
; NumVgprs: 68
; ScratchSize: 0
; MemoryBound: 0
; FloatMode: 240
; IeeeMode: 1
; LDSByteSize: 128 bytes/workgroup (compile time only)
; SGPRBlocks: 5
; VGPRBlocks: 16
; NumSGPRsForWavesPerEU: 48
; NumVGPRsForWavesPerEU: 68
; Occupancy: 3
; WaveLimiterHint : 1
; COMPUTE_PGM_RSRC2:SCRATCH_EN: 0
; COMPUTE_PGM_RSRC2:USER_SGPR: 6
; COMPUTE_PGM_RSRC2:TRAP_HANDLER: 0
; COMPUTE_PGM_RSRC2:TGID_X_EN: 1
; COMPUTE_PGM_RSRC2:TGID_Y_EN: 1
; COMPUTE_PGM_RSRC2:TGID_Z_EN: 0
; COMPUTE_PGM_RSRC2:TIDIG_COMP_CNT: 0
	.section	.text._Z12ssm_scan_f32ILm128ELm16ELm6EEvPKfS1_S1_S1_S1_S1_PKiPfiiiiiiiiiiilll,"axG",@progbits,_Z12ssm_scan_f32ILm128ELm16ELm6EEvPKfS1_S1_S1_S1_S1_PKiPfiiiiiiiiiiilll,comdat
	.protected	_Z12ssm_scan_f32ILm128ELm16ELm6EEvPKfS1_S1_S1_S1_S1_PKiPfiiiiiiiiiiilll ; -- Begin function _Z12ssm_scan_f32ILm128ELm16ELm6EEvPKfS1_S1_S1_S1_S1_PKiPfiiiiiiiiiiilll
	.globl	_Z12ssm_scan_f32ILm128ELm16ELm6EEvPKfS1_S1_S1_S1_S1_PKiPfiiiiiiiiiiilll
	.p2align	8
	.type	_Z12ssm_scan_f32ILm128ELm16ELm6EEvPKfS1_S1_S1_S1_S1_PKiPfiiiiiiiiiiilll,@function
_Z12ssm_scan_f32ILm128ELm16ELm6EEvPKfS1_S1_S1_S1_S1_PKiPfiiiiiiiiiiilll: ; @_Z12ssm_scan_f32ILm128ELm16ELm6EEvPKfS1_S1_S1_S1_S1_PKiPfiiiiiiiiiiilll
; %bb.0:
	s_load_dwordx16 s[8:23], s[4:5], 0x0
	s_load_dwordx8 s[24:31], s[4:5], 0x40
	s_mov_b32 s2, s7
	s_mov_b32 s7, 0
	s_lshl_b64 s[0:1], s[6:7], 2
	s_waitcnt lgkmcnt(0)
	s_add_u32 s0, s20, s0
	s_addc_u32 s1, s21, s1
	s_load_dword s0, s[0:1], 0x0
	v_mov_b32_e32 v2, 0
	s_load_dwordx4 s[40:43], s[4:5], 0x60
	s_waitcnt lgkmcnt(0)
	s_mul_i32 s0, s0, s25
	s_ashr_i32 s1, s0, 31
	s_add_u32 s0, s8, s0
	s_addc_u32 s1, s9, s1
	s_lshl_b32 s3, s2, 7
	s_ashr_i32 s8, s24, 31
	s_mul_i32 s8, s3, s8
	s_mul_hi_u32 s9, s3, s24
	s_add_i32 s8, s9, s8
	s_lshr_b32 s9, s2, 25
	s_mul_i32 s20, s9, s24
	s_add_i32 s33, s8, s20
	s_mul_i32 s34, s3, s24
	s_add_u32 s0, s0, s34
	s_addc_u32 s1, s1, s33
	s_ashr_i32 s8, s30, 31
	s_mul_i32 s8, s3, s8
	s_mul_hi_u32 s20, s3, s30
	s_add_i32 s8, s20, s8
	s_mul_i32 s9, s9, s30
	s_add_i32 s8, s8, s9
	s_mul_i32 s3, s3, s30
	s_add_u32 s3, s14, s3
	s_addc_u32 s8, s15, s8
	s_ashr_i32 s9, s30, 2
	v_mul_lo_u32 v1, s9, v0
	s_ashr_i32 s9, s24, 2
	v_mov_b32_e32 v5, s8
	v_lshlrev_b64 v[3:4], 2, v[1:2]
	v_mul_lo_u32 v1, s9, v0
	v_add_co_u32_e32 v35, vcc, s3, v3
	v_addc_co_u32_e32 v36, vcc, v5, v4, vcc
	v_lshlrev_b64 v[33:34], 2, v[1:2]
	v_mov_b32_e32 v1, s1
	v_add_co_u32_e32 v37, vcc, s0, v33
	v_addc_co_u32_e32 v38, vcc, v1, v34, vcc
	global_load_dwordx4 v[1:4], v[35:36], off offset:48
	global_load_dwordx4 v[5:8], v[35:36], off offset:32
	;; [unrolled: 1-line block ×3, first 2 shown]
	global_load_dwordx4 v[13:16], v[35:36], off
	global_load_dwordx4 v[17:20], v[37:38], off offset:48
	global_load_dwordx4 v[21:24], v[37:38], off offset:32
	;; [unrolled: 1-line block ×3, first 2 shown]
	global_load_dwordx4 v[29:32], v[37:38], off
	s_mul_i32 s0, s40, s6
	s_add_u32 s0, s16, s0
	s_mov_b32 s3, s7
	s_mul_i32 s1, s42, s6
	s_addc_u32 s7, s17, 0
	v_cmp_gt_u32_e32 vcc, 16, v0
	v_lshlrev_b32_e32 v0, 2, v0
	s_add_u32 s8, s18, s1
	v_mov_b32_e32 v36, s7
	v_add_co_u32_e64 v35, s[0:1], s0, v0
	s_addc_u32 s9, s19, 0
	v_addc_co_u32_e64 v36, s[0:1], 0, v36, s[0:1]
	v_mov_b32_e32 v38, s9
	v_add_co_u32_e64 v37, s[0:1], s8, v0
	v_addc_co_u32_e64 v38, s[0:1], 0, v38, s[0:1]
	v_add_u32_e32 v41, 64, v0
	s_and_saveexec_b64 s[0:1], vcc
	s_cbranch_execz .LBB7_2
; %bb.1:
	global_load_dword v39, v[35:36], off
	global_load_dword v40, v[37:38], off
	s_waitcnt vmcnt(1)
	ds_write_b32 v0, v39
	s_waitcnt vmcnt(0)
	ds_write_b32 v41, v40
.LBB7_2:
	s_or_b64 exec, exec, s[0:1]
	s_lshl_b64 s[2:3], s[2:3], 9
	s_mul_i32 s0, s29, s6
	s_add_u32 s0, s12, s0
	s_addc_u32 s1, s13, 0
	s_add_u32 s0, s0, s2
	s_addc_u32 s1, s1, s3
	s_waitcnt vmcnt(0) lgkmcnt(0)
	s_barrier
	global_load_dword v45, v0, s[0:1]
	v_mov_b32_e32 v39, s1
	v_add_co_u32_e64 v42, s[0:1], s0, v0
	v_addc_co_u32_e64 v44, s[0:1], 0, v39, s[0:1]
	s_mov_b32 s0, 0x41a00000
	s_waitcnt vmcnt(0)
	v_cmp_ge_f32_e64 s[0:1], s0, v45
	s_and_saveexec_b64 s[8:9], s[0:1]
	s_cbranch_execz .LBB7_4
; %bb.3:
	v_mul_f32_e32 v39, 0x3fb8aa3b, v45
	s_mov_b32 s0, 0x3fb8aa3b
	v_rndne_f32_e32 v40, v39
	v_sub_f32_e32 v43, v39, v40
	v_fma_f32 v39, v45, s0, -v39
	v_fmac_f32_e32 v39, 0x32a5705f, v45
	v_add_f32_e32 v39, v43, v39
	v_exp_f32_e32 v39, v39
	v_cvt_i32_f32_e32 v40, v40
	s_mov_b32 s0, 0xc2ce8ed0
	v_cmp_ngt_f32_e64 s[0:1], s0, v45
	v_mov_b32_e32 v43, 0x7f800000
	v_ldexp_f32 v39, v39, v40
	v_cndmask_b32_e64 v39, 0, v39, s[0:1]
	s_mov_b32 s0, 0x42b17218
	v_cmp_nlt_f32_e64 s[0:1], s0, v45
	v_cndmask_b32_e64 v45, v43, v39, s[0:1]
	v_add_f32_e32 v46, 1.0, v45
	v_cvt_f64_f32_e32 v[39:40], v46
	v_add_f32_e32 v47, -1.0, v46
	v_sub_f32_e32 v48, v47, v46
	v_sub_f32_e32 v47, v45, v47
	v_frexp_exp_i32_f64_e32 v39, v[39:40]
	v_add_f32_e32 v40, 1.0, v48
	v_add_f32_e32 v40, v47, v40
	v_frexp_mant_f32_e32 v47, v46
	s_mov_b32 s0, 0x3f2aaaab
	v_cmp_gt_f32_e64 s[0:1], s0, v47
	s_mov_b32 s7, 0x7f800000
	v_subbrev_co_u32_e64 v39, s[0:1], 0, v39, s[0:1]
	v_sub_u32_e32 v47, 0, v39
	v_ldexp_f32 v46, v46, v47
	v_ldexp_f32 v40, v40, v47
	v_add_f32_e32 v47, -1.0, v46
	v_add_f32_e32 v50, 1.0, v46
	v_add_f32_e32 v48, 1.0, v47
	v_add_f32_e32 v51, -1.0, v50
	v_sub_f32_e32 v48, v46, v48
	v_sub_f32_e32 v46, v46, v51
	v_add_f32_e32 v48, v40, v48
	v_add_f32_e32 v40, v40, v46
	;; [unrolled: 1-line block ×3, first 2 shown]
	v_rcp_f32_e32 v51, v46
	v_add_f32_e32 v49, v47, v48
	v_sub_f32_e32 v47, v47, v49
	v_add_f32_e32 v47, v48, v47
	v_sub_f32_e32 v48, v50, v46
	v_add_f32_e32 v40, v40, v48
	v_mul_f32_e32 v48, v49, v51
	v_mul_f32_e32 v50, v46, v48
	v_fma_f32 v52, v48, v46, -v50
	v_fmac_f32_e32 v52, v48, v40
	v_add_f32_e32 v53, v50, v52
	v_sub_f32_e32 v54, v49, v53
	v_sub_f32_e32 v49, v49, v54
	;; [unrolled: 1-line block ×4, first 2 shown]
	v_add_f32_e32 v47, v47, v49
	v_sub_f32_e32 v49, v50, v52
	v_add_f32_e32 v47, v49, v47
	v_add_f32_e32 v49, v54, v47
	v_mul_f32_e32 v50, v51, v49
	v_mul_f32_e32 v52, v46, v50
	v_fma_f32 v46, v50, v46, -v52
	v_fmac_f32_e32 v46, v50, v40
	v_sub_f32_e32 v40, v54, v49
	v_add_f32_e32 v40, v47, v40
	v_add_f32_e32 v47, v52, v46
	v_sub_f32_e32 v53, v49, v47
	v_sub_f32_e32 v49, v49, v53
	;; [unrolled: 1-line block ×4, first 2 shown]
	v_add_f32_e32 v40, v40, v47
	v_sub_f32_e32 v46, v52, v46
	v_add_f32_e32 v40, v46, v40
	v_add_f32_e32 v46, v48, v50
	v_add_f32_e32 v40, v53, v40
	v_sub_f32_e32 v47, v46, v48
	v_mul_f32_e32 v40, v51, v40
	v_sub_f32_e32 v47, v50, v47
	v_add_f32_e32 v40, v47, v40
	v_cvt_f32_i32_e32 v39, v39
	v_add_f32_e32 v47, v46, v40
	v_mul_f32_e32 v48, v47, v47
	v_mov_b32_e32 v49, 0x3ecc95a3
	v_fmac_f32_e32 v49, 0x3e9b6dac, v48
	v_mov_b32_e32 v50, 0x3f2aaada
	v_fmac_f32_e32 v50, v48, v49
	s_mov_b32 s0, 0x3f317218
	v_mul_f32_e32 v49, 0x3f317218, v39
	v_fma_f32 v51, v39, s0, -v49
	v_fmac_f32_e32 v51, 0xb102e308, v39
	v_sub_f32_e32 v39, v47, v46
	v_sub_f32_e32 v39, v40, v39
	v_add_f32_e32 v40, v49, v51
	v_sub_f32_e32 v46, v40, v49
	v_ldexp_f32 v49, v47, 1
	v_mul_f32_e32 v47, v47, v48
	v_mul_f32_e32 v47, v47, v50
	v_add_f32_e32 v48, v49, v47
	v_sub_f32_e32 v49, v48, v49
	v_ldexp_f32 v39, v39, 1
	v_sub_f32_e32 v47, v47, v49
	v_add_f32_e32 v39, v39, v47
	v_add_f32_e32 v47, v48, v39
	v_sub_f32_e32 v48, v47, v48
	v_sub_f32_e32 v39, v39, v48
	v_add_f32_e32 v48, v40, v47
	v_sub_f32_e32 v49, v48, v40
	v_sub_f32_e32 v50, v48, v49
	;; [unrolled: 1-line block ×5, first 2 shown]
	v_add_f32_e32 v40, v47, v40
	v_add_f32_e32 v47, v46, v39
	v_sub_f32_e32 v49, v47, v46
	v_sub_f32_e32 v50, v47, v49
	;; [unrolled: 1-line block ×4, first 2 shown]
	v_add_f32_e32 v40, v47, v40
	v_add_f32_e32 v39, v39, v46
	;; [unrolled: 1-line block ×3, first 2 shown]
	v_sub_f32_e32 v47, v46, v48
	v_sub_f32_e32 v40, v40, v47
	v_add_f32_e32 v39, v39, v40
	v_add_f32_e32 v39, v46, v39
	v_cmp_neq_f32_e64 s[0:1], s7, v45
	v_cndmask_b32_e64 v39, v43, v39, s[0:1]
	s_mov_b32 s0, 0x33800000
	v_cmp_gt_f32_e64 s[0:1], s0, v45
	v_cndmask_b32_e64 v45, v39, v45, s[0:1]
.LBB7_4:
	s_or_b64 exec, exec, s[8:9]
	s_load_dwordx4 s[36:39], s[4:5], 0x70
	s_mul_i32 s0, s27, s6
	v_mul_f32_e32 v39, v45, v13
	s_mov_b32 s9, 0x3fb8aa3b
	v_mul_f32_e32 v40, v45, v14
	s_waitcnt lgkmcnt(0)
	s_mul_i32 s1, s6, s39
	s_mul_hi_u32 s4, s6, s38
	s_mul_i32 s5, s6, s38
	s_add_i32 s1, s4, s1
	s_mul_hi_u32 s4, s5, 24
	s_mul_i32 s1, s1, 24
	s_add_i32 s4, s4, s1
	s_mul_i32 s5, s5, 24
	s_add_u32 s13, s22, s5
	s_addc_u32 s12, s23, s4
	s_ashr_i32 s18, s31, 2
	s_add_u32 s0, s10, s0
	s_addc_u32 s1, s11, 0
	s_add_u32 s4, s0, s2
	s_addc_u32 s5, s1, s3
	global_load_dword v43, v0, s[4:5]
	v_mul_f32_e32 v62, 0x3fb8aa3b, v39
	v_mul_f32_e32 v47, v45, v15
	;; [unrolled: 1-line block ×3, first 2 shown]
	v_fma_f32 v66, v39, s9, -v62
	v_rndne_f32_e32 v67, v62
	v_mul_f32_e32 v48, v45, v16
	v_mul_f32_e32 v64, 0x3fb8aa3b, v47
	v_fma_f32 v68, v40, s9, -v63
	v_rndne_f32_e32 v69, v63
	v_fmac_f32_e32 v66, 0x32a5705f, v39
	v_sub_f32_e32 v62, v62, v67
	v_mul_f32_e32 v65, 0x3fb8aa3b, v48
	v_fma_f32 v70, v47, s9, -v64
	v_rndne_f32_e32 v71, v64
	v_fmac_f32_e32 v68, 0x32a5705f, v40
	v_sub_f32_e32 v63, v63, v69
	v_add_f32_e32 v62, v62, v66
	v_fma_f32 v72, v48, s9, -v65
	v_rndne_f32_e32 v73, v65
	v_fmac_f32_e32 v70, 0x32a5705f, v47
	v_sub_f32_e32 v64, v64, v71
	v_cvt_i32_f32_e32 v67, v67
	v_add_f32_e32 v63, v63, v68
	v_exp_f32_e32 v62, v62
	v_fmac_f32_e32 v72, 0x32a5705f, v48
	v_sub_f32_e32 v65, v65, v73
	v_cvt_i32_f32_e32 v69, v69
	v_add_f32_e32 v64, v64, v70
	v_exp_f32_e32 v63, v63
	v_cvt_i32_f32_e32 v71, v71
	v_add_f32_e32 v65, v65, v72
	v_exp_f32_e32 v64, v64
	s_mov_b32 s7, 0xc2ce8ed0
	v_cvt_i32_f32_e32 v73, v73
	v_exp_f32_e32 v65, v65
	v_ldexp_f32 v62, v62, v67
	v_cmp_ngt_f32_e64 s[0:1], s7, v39
	v_ldexp_f32 v63, v63, v69
	v_cndmask_b32_e64 v62, 0, v62, s[0:1]
	v_cmp_ngt_f32_e64 s[0:1], s7, v40
	v_ldexp_f32 v64, v64, v71
	v_cndmask_b32_e64 v63, 0, v63, s[0:1]
	v_cmp_ngt_f32_e64 s[0:1], s7, v47
	v_mov_b32_e32 v53, 0
	s_mov_b32 s8, 0x42b17218
	v_ldexp_f32 v65, v65, v73
	v_cndmask_b32_e64 v64, 0, v64, s[0:1]
	v_cmp_ngt_f32_e64 s[0:1], s7, v48
	v_mov_b32_e32 v46, 0x7f800000
	ds_read_b128 v[49:52], v53
	ds_read_b128 v[54:57], v53 offset:16
	ds_read_b128 v[58:61], v53 offset:64
	v_cndmask_b32_e64 v65, 0, v65, s[0:1]
	v_cmp_nlt_f32_e64 s[0:1], s8, v39
	v_cndmask_b32_e64 v62, v46, v62, s[0:1]
	v_cmp_nlt_f32_e64 s[0:1], s8, v40
	;; [unrolled: 2-line block ×4, first 2 shown]
	v_cndmask_b32_e64 v65, v46, v65, s[0:1]
	v_mov_b32_e32 v40, s5
	s_add_u32 s2, s13, s2
	v_add_co_u32_e64 v39, s[0:1], s4, v0
	v_addc_co_u32_e64 v40, s[0:1], 0, v40, s[0:1]
	s_addc_u32 s3, s12, s3
	v_mov_b32_e32 v66, s3
	s_ashr_i32 s20, s41, 2
	s_ashr_i32 s19, s18, 31
	;; [unrolled: 1-line block ×3, first 2 shown]
	s_waitcnt vmcnt(0)
	v_mul_f32_e32 v67, v45, v43
	s_waitcnt lgkmcnt(2)
	v_mul_f32_e32 v48, v67, v51
	v_mul_f32_e32 v47, v67, v52
	v_fmac_f32_e32 v48, v31, v64
	v_mul_f32_e32 v31, v45, v9
	v_fmac_f32_e32 v47, v32, v65
	v_mul_f32_e32 v32, 0x3fb8aa3b, v31
	v_fma_f32 v43, v31, s9, -v32
	v_rndne_f32_e32 v51, v32
	v_fmac_f32_e32 v43, 0x32a5705f, v31
	v_sub_f32_e32 v32, v32, v51
	v_add_f32_e32 v32, v32, v43
	v_exp_f32_e32 v32, v32
	v_cvt_i32_f32_e32 v43, v51
	v_mul_f32_e32 v49, v67, v49
	v_mul_f32_e32 v50, v67, v50
	v_fmac_f32_e32 v49, v29, v62
	v_ldexp_f32 v32, v32, v43
	v_mul_f32_e32 v43, v45, v10
	v_add_co_u32_e64 v29, s[0:1], s2, v0
	v_mul_f32_e32 v51, 0x3fb8aa3b, v43
	v_fmac_f32_e32 v50, v30, v63
	v_addc_co_u32_e64 v30, s[0:1], 0, v66, s[0:1]
	s_waitcnt lgkmcnt(0)
	v_fma_f32 v66, v58, v49, 0
	v_fma_f32 v52, v43, s9, -v51
	v_rndne_f32_e32 v58, v51
	v_fmac_f32_e32 v52, 0x32a5705f, v43
	v_sub_f32_e32 v51, v51, v58
	v_add_f32_e32 v51, v51, v52
	v_cmp_ngt_f32_e64 s[0:1], s7, v31
	v_exp_f32_e32 v51, v51
	v_cvt_i32_f32_e32 v52, v58
	v_cndmask_b32_e64 v32, 0, v32, s[0:1]
	v_cmp_nlt_f32_e64 s[0:1], s8, v31
	v_cndmask_b32_e64 v32, v46, v32, s[0:1]
	v_mul_f32_e32 v31, v67, v54
	v_fmac_f32_e32 v31, v25, v32
	v_mul_f32_e32 v32, v45, v11
	v_ldexp_f32 v25, v51, v52
	v_mul_f32_e32 v51, 0x3fb8aa3b, v32
	v_fma_f32 v52, v32, s9, -v51
	v_rndne_f32_e32 v54, v51
	v_fmac_f32_e32 v52, 0x32a5705f, v32
	v_sub_f32_e32 v51, v51, v54
	v_cmp_ngt_f32_e64 s[0:1], s7, v43
	v_add_f32_e32 v51, v51, v52
	v_cndmask_b32_e64 v25, 0, v25, s[0:1]
	v_exp_f32_e32 v52, v51
	v_cvt_i32_f32_e32 v54, v54
	v_cmp_nlt_f32_e64 s[0:1], s8, v43
	v_cndmask_b32_e64 v25, v46, v25, s[0:1]
	v_mul_f32_e32 v51, v67, v55
	v_fmac_f32_e32 v51, v26, v25
	v_mul_f32_e32 v26, v45, v12
	v_mul_f32_e32 v43, 0x3fb8aa3b, v26
	v_ldexp_f32 v25, v52, v54
	v_fma_f32 v52, v26, s9, -v43
	v_rndne_f32_e32 v54, v43
	v_fmac_f32_e32 v52, 0x32a5705f, v26
	v_sub_f32_e32 v43, v43, v54
	v_add_f32_e32 v43, v43, v52
	v_exp_f32_e32 v43, v43
	v_cvt_i32_f32_e32 v54, v54
	v_cmp_ngt_f32_e64 s[0:1], s7, v32
	v_cndmask_b32_e64 v25, 0, v25, s[0:1]
	v_cmp_nlt_f32_e64 s[0:1], s8, v32
	v_cndmask_b32_e64 v25, v46, v25, s[0:1]
	v_mul_f32_e32 v52, v67, v56
	v_fmac_f32_e32 v52, v27, v25
	v_ldexp_f32 v27, v43, v54
	v_cmp_ngt_f32_e64 s[0:1], s7, v26
	v_cndmask_b32_e64 v27, 0, v27, s[0:1]
	v_cmp_nlt_f32_e64 s[0:1], s8, v26
	v_mul_f32_e32 v25, v67, v57
	v_cndmask_b32_e64 v26, v46, v27, s[0:1]
	v_fmac_f32_e32 v25, v28, v26
	v_mul_f32_e32 v26, v45, v5
	v_mul_f32_e32 v27, 0x3fb8aa3b, v26
	v_fma_f32 v28, v26, s9, -v27
	v_rndne_f32_e32 v32, v27
	v_fmac_f32_e32 v28, 0x32a5705f, v26
	v_sub_f32_e32 v27, v27, v32
	v_add_f32_e32 v27, v27, v28
	v_exp_f32_e32 v27, v27
	v_cvt_i32_f32_e32 v28, v32
	ds_read_b128 v[62:65], v53 offset:80
	v_mul_f32_e32 v32, v45, v6
	ds_read_b128 v[54:57], v53 offset:32
	v_ldexp_f32 v27, v27, v28
	v_mul_f32_e32 v28, 0x3fb8aa3b, v32
	v_fmac_f32_e32 v66, v59, v50
	v_fma_f32 v43, v32, s9, -v28
	v_rndne_f32_e32 v58, v28
	v_fmac_f32_e32 v66, v60, v48
	v_fmac_f32_e32 v43, 0x32a5705f, v32
	v_sub_f32_e32 v28, v28, v58
	v_fmac_f32_e32 v66, v61, v47
	v_cmp_ngt_f32_e64 s[0:1], s7, v26
	v_add_f32_e32 v28, v28, v43
	s_waitcnt lgkmcnt(1)
	v_fmac_f32_e32 v66, v62, v31
	v_cndmask_b32_e64 v27, 0, v27, s[0:1]
	v_exp_f32_e32 v43, v28
	v_cvt_i32_f32_e32 v62, v58
	v_cmp_nlt_f32_e64 s[0:1], s8, v26
	v_cndmask_b32_e64 v26, v46, v27, s[0:1]
	ds_read_b128 v[58:61], v53 offset:48
	s_waitcnt lgkmcnt(1)
	v_mul_f32_e32 v28, v67, v54
	v_fmac_f32_e32 v28, v21, v26
	v_mul_f32_e32 v26, v45, v7
	v_mul_f32_e32 v27, 0x3fb8aa3b, v26
	v_ldexp_f32 v21, v43, v62
	v_fma_f32 v43, v26, s9, -v27
	v_rndne_f32_e32 v54, v27
	v_fmac_f32_e32 v43, 0x32a5705f, v26
	v_sub_f32_e32 v27, v27, v54
	v_add_f32_e32 v27, v27, v43
	v_exp_f32_e32 v27, v27
	v_cvt_i32_f32_e32 v54, v54
	v_cmp_ngt_f32_e64 s[0:1], s7, v32
	v_cndmask_b32_e64 v21, 0, v21, s[0:1]
	v_cmp_nlt_f32_e64 s[0:1], s8, v32
	v_cndmask_b32_e64 v21, v46, v21, s[0:1]
	v_mul_f32_e32 v43, v67, v55
	v_fmac_f32_e32 v43, v22, v21
	v_ldexp_f32 v21, v27, v54
	v_cmp_ngt_f32_e64 s[0:1], s7, v26
	v_mul_f32_e32 v22, v45, v8
	v_cndmask_b32_e64 v21, 0, v21, s[0:1]
	v_cmp_nlt_f32_e64 s[0:1], s8, v26
	v_mul_f32_e32 v26, 0x3fb8aa3b, v22
	v_fma_f32 v27, v22, s9, -v26
	v_rndne_f32_e32 v32, v26
	v_fmac_f32_e32 v27, 0x32a5705f, v22
	v_sub_f32_e32 v26, v26, v32
	v_add_f32_e32 v26, v26, v27
	v_exp_f32_e32 v62, v26
	v_cvt_i32_f32_e32 v32, v32
	v_cndmask_b32_e64 v21, v46, v21, s[0:1]
	v_mul_f32_e32 v27, v67, v56
	v_fmac_f32_e32 v27, v23, v21
	v_ldexp_f32 v21, v62, v32
	v_cmp_ngt_f32_e64 s[0:1], s7, v22
	v_cndmask_b32_e64 v21, 0, v21, s[0:1]
	v_cmp_nlt_f32_e64 s[0:1], s8, v22
	v_mul_f32_e32 v26, v67, v57
	v_cndmask_b32_e64 v21, v46, v21, s[0:1]
	v_fmac_f32_e32 v26, v24, v21
	v_mul_f32_e32 v21, v45, v1
	v_mul_f32_e32 v22, 0x3fb8aa3b, v21
	v_fma_f32 v23, v21, s9, -v22
	v_rndne_f32_e32 v24, v22
	v_fmac_f32_e32 v23, 0x32a5705f, v21
	v_sub_f32_e32 v22, v22, v24
	v_add_f32_e32 v22, v22, v23
	v_exp_f32_e32 v22, v22
	v_cvt_i32_f32_e32 v23, v24
	v_fmac_f32_e32 v66, v63, v51
	v_fmac_f32_e32 v66, v64, v52
	;; [unrolled: 1-line block ×3, first 2 shown]
	v_ldexp_f32 v22, v22, v23
	v_mul_f32_e32 v23, v45, v2
	v_mul_f32_e32 v24, 0x3fb8aa3b, v23
	ds_read_b128 v[54:57], v53 offset:96
	ds_read_b128 v[62:65], v53 offset:112
	v_fma_f32 v32, v23, s9, -v24
	v_rndne_f32_e32 v53, v24
	v_fmac_f32_e32 v32, 0x32a5705f, v23
	v_sub_f32_e32 v24, v24, v53
	v_cmp_ngt_f32_e64 s[0:1], s7, v21
	v_add_f32_e32 v24, v24, v32
	v_cndmask_b32_e64 v22, 0, v22, s[0:1]
	v_exp_f32_e32 v32, v24
	v_cvt_i32_f32_e32 v53, v53
	v_cmp_nlt_f32_e64 s[0:1], s8, v21
	v_cndmask_b32_e64 v21, v46, v22, s[0:1]
	s_waitcnt lgkmcnt(2)
	v_mul_f32_e32 v24, v67, v58
	v_fmac_f32_e32 v24, v17, v21
	v_mul_f32_e32 v21, v45, v3
	v_mul_f32_e32 v22, 0x3fb8aa3b, v21
	v_ldexp_f32 v17, v32, v53
	v_fma_f32 v32, v21, s9, -v22
	v_rndne_f32_e32 v53, v22
	v_fmac_f32_e32 v32, 0x32a5705f, v21
	v_sub_f32_e32 v22, v22, v53
	v_add_f32_e32 v22, v22, v32
	v_cmp_ngt_f32_e64 s[0:1], s7, v23
	v_exp_f32_e32 v22, v22
	v_cvt_i32_f32_e32 v32, v53
	v_cndmask_b32_e64 v17, 0, v17, s[0:1]
	v_cmp_nlt_f32_e64 s[0:1], s8, v23
	v_cndmask_b32_e64 v17, v46, v17, s[0:1]
	v_mul_f32_e32 v53, v67, v59
	v_fmac_f32_e32 v53, v18, v17
	v_mul_f32_e32 v18, v45, v4
	v_ldexp_f32 v17, v22, v32
	v_mul_f32_e32 v22, 0x3fb8aa3b, v18
	v_fma_f32 v23, v18, s9, -v22
	v_rndne_f32_e32 v32, v22
	v_fmac_f32_e32 v23, 0x32a5705f, v18
	v_sub_f32_e32 v22, v22, v32
	v_add_f32_e32 v22, v22, v23
	v_exp_f32_e32 v23, v22
	v_cvt_i32_f32_e32 v32, v32
	s_waitcnt lgkmcnt(1)
	v_fmac_f32_e32 v66, v54, v28
	v_cmp_ngt_f32_e64 s[0:1], s7, v21
	v_fmac_f32_e32 v66, v55, v43
	v_cndmask_b32_e64 v17, 0, v17, s[0:1]
	v_cmp_nlt_f32_e64 s[0:1], s8, v21
	v_fmac_f32_e32 v66, v56, v27
	v_cndmask_b32_e64 v17, v46, v17, s[0:1]
	v_mul_f32_e32 v22, v67, v60
	v_fmac_f32_e32 v66, v57, v26
	v_fmac_f32_e32 v22, v19, v17
	v_ldexp_f32 v17, v23, v32
	v_cmp_ngt_f32_e64 s[0:1], s7, v18
	s_waitcnt lgkmcnt(0)
	v_fmac_f32_e32 v66, v62, v24
	v_cndmask_b32_e64 v17, 0, v17, s[0:1]
	v_cmp_nlt_f32_e64 s[0:1], s8, v18
	v_fmac_f32_e32 v66, v63, v53
	v_cndmask_b32_e64 v17, v46, v17, s[0:1]
	v_mul_f32_e32 v21, v67, v61
	v_fmac_f32_e32 v66, v64, v22
	v_fmac_f32_e32 v21, v20, v17
	;; [unrolled: 1-line block ×3, first 2 shown]
	global_store_dword v0, v66, s[2:3]
	s_waitcnt vmcnt(0)
	s_barrier
	s_and_saveexec_b64 s[2:3], vcc
	s_cbranch_execz .LBB7_6
; %bb.5:
	s_lshl_b64 s[0:1], s[18:19], 2
	v_mov_b32_e32 v18, s1
	v_add_co_u32_e64 v17, s[0:1], s0, v35
	v_addc_co_u32_e64 v18, s[0:1], v36, v18, s[0:1]
	s_lshl_b64 s[0:1], s[20:21], 2
	global_load_dword v19, v[17:18], off
	v_mov_b32_e32 v18, s1
	v_add_co_u32_e64 v17, s[0:1], s0, v37
	v_addc_co_u32_e64 v18, s[0:1], v38, v18, s[0:1]
	global_load_dword v17, v[17:18], off
	s_waitcnt vmcnt(1)
	ds_write_b32 v0, v19
	s_waitcnt vmcnt(0)
	ds_write_b32 v41, v17
.LBB7_6:
	s_or_b64 exec, exec, s[2:3]
	s_ashr_i32 s0, s28, 2
	s_ashr_i32 s1, s0, 31
	s_lshl_b64 s[28:29], s[0:1], 2
	v_mov_b32_e32 v18, s29
	v_add_co_u32_e64 v17, s[0:1], s28, v42
	v_addc_co_u32_e64 v18, s[0:1], v44, v18, s[0:1]
	s_waitcnt lgkmcnt(0)
	s_barrier
	global_load_dword v23, v[17:18], off
	s_mov_b32 s0, 0x41a00000
	s_waitcnt vmcnt(0)
	v_cmp_ge_f32_e64 s[0:1], s0, v23
	s_and_saveexec_b64 s[2:3], s[0:1]
	s_cbranch_execz .LBB7_8
; %bb.7:
	v_mul_f32_e32 v19, 0x3fb8aa3b, v23
	s_mov_b32 s0, 0x3fb8aa3b
	v_rndne_f32_e32 v20, v19
	v_sub_f32_e32 v32, v19, v20
	v_fma_f32 v19, v23, s0, -v19
	v_fmac_f32_e32 v19, 0x32a5705f, v23
	v_add_f32_e32 v19, v32, v19
	v_exp_f32_e32 v19, v19
	v_cvt_i32_f32_e32 v20, v20
	s_mov_b32 s0, 0xc2ce8ed0
	v_cmp_ngt_f32_e64 s[0:1], s0, v23
	v_mov_b32_e32 v32, 0x7f800000
	v_ldexp_f32 v19, v19, v20
	v_cndmask_b32_e64 v19, 0, v19, s[0:1]
	s_mov_b32 s0, 0x42b17218
	v_cmp_nlt_f32_e64 s[0:1], s0, v23
	v_cndmask_b32_e64 v23, v32, v19, s[0:1]
	v_add_f32_e32 v42, 1.0, v23
	v_cvt_f64_f32_e32 v[19:20], v42
	v_add_f32_e32 v44, -1.0, v42
	v_sub_f32_e32 v45, v44, v42
	v_sub_f32_e32 v44, v23, v44
	v_frexp_exp_i32_f64_e32 v19, v[19:20]
	v_add_f32_e32 v20, 1.0, v45
	v_add_f32_e32 v20, v44, v20
	v_frexp_mant_f32_e32 v44, v42
	s_mov_b32 s0, 0x3f2aaaab
	v_cmp_gt_f32_e64 s[0:1], s0, v44
	s_mov_b32 s4, 0x7f800000
	v_subbrev_co_u32_e64 v19, s[0:1], 0, v19, s[0:1]
	v_sub_u32_e32 v44, 0, v19
	v_ldexp_f32 v42, v42, v44
	v_ldexp_f32 v20, v20, v44
	v_add_f32_e32 v44, -1.0, v42
	v_add_f32_e32 v54, 1.0, v42
	v_add_f32_e32 v45, 1.0, v44
	v_add_f32_e32 v55, -1.0, v54
	v_sub_f32_e32 v45, v42, v45
	v_sub_f32_e32 v42, v42, v55
	v_add_f32_e32 v45, v20, v45
	v_add_f32_e32 v20, v20, v42
	;; [unrolled: 1-line block ×3, first 2 shown]
	v_rcp_f32_e32 v55, v42
	v_add_f32_e32 v46, v44, v45
	v_sub_f32_e32 v44, v44, v46
	v_add_f32_e32 v44, v45, v44
	v_sub_f32_e32 v45, v54, v42
	v_add_f32_e32 v20, v20, v45
	v_mul_f32_e32 v45, v46, v55
	v_mul_f32_e32 v54, v42, v45
	v_fma_f32 v56, v45, v42, -v54
	v_fmac_f32_e32 v56, v45, v20
	v_add_f32_e32 v57, v54, v56
	v_sub_f32_e32 v58, v46, v57
	v_sub_f32_e32 v46, v46, v58
	;; [unrolled: 1-line block ×4, first 2 shown]
	v_add_f32_e32 v44, v44, v46
	v_sub_f32_e32 v46, v54, v56
	v_add_f32_e32 v44, v46, v44
	v_add_f32_e32 v46, v58, v44
	v_mul_f32_e32 v54, v55, v46
	v_mul_f32_e32 v56, v42, v54
	v_fma_f32 v42, v54, v42, -v56
	v_fmac_f32_e32 v42, v54, v20
	v_sub_f32_e32 v20, v58, v46
	v_add_f32_e32 v20, v44, v20
	v_add_f32_e32 v44, v56, v42
	v_sub_f32_e32 v57, v46, v44
	v_sub_f32_e32 v46, v46, v57
	;; [unrolled: 1-line block ×4, first 2 shown]
	v_add_f32_e32 v20, v20, v44
	v_sub_f32_e32 v42, v56, v42
	v_add_f32_e32 v20, v42, v20
	v_add_f32_e32 v42, v45, v54
	;; [unrolled: 1-line block ×3, first 2 shown]
	v_sub_f32_e32 v44, v42, v45
	v_mul_f32_e32 v20, v55, v20
	v_sub_f32_e32 v44, v54, v44
	v_add_f32_e32 v20, v44, v20
	v_cvt_f32_i32_e32 v19, v19
	v_add_f32_e32 v44, v42, v20
	v_mul_f32_e32 v45, v44, v44
	v_mov_b32_e32 v46, 0x3ecc95a3
	v_fmac_f32_e32 v46, 0x3e9b6dac, v45
	v_mov_b32_e32 v54, 0x3f2aaada
	v_fmac_f32_e32 v54, v45, v46
	s_mov_b32 s0, 0x3f317218
	v_mul_f32_e32 v46, 0x3f317218, v19
	v_fma_f32 v55, v19, s0, -v46
	v_fmac_f32_e32 v55, 0xb102e308, v19
	v_sub_f32_e32 v19, v44, v42
	v_sub_f32_e32 v19, v20, v19
	v_add_f32_e32 v20, v46, v55
	v_sub_f32_e32 v42, v20, v46
	v_ldexp_f32 v46, v44, 1
	v_mul_f32_e32 v44, v44, v45
	v_mul_f32_e32 v44, v44, v54
	v_add_f32_e32 v45, v46, v44
	v_sub_f32_e32 v46, v45, v46
	v_ldexp_f32 v19, v19, 1
	v_sub_f32_e32 v44, v44, v46
	v_add_f32_e32 v19, v19, v44
	v_add_f32_e32 v44, v45, v19
	v_sub_f32_e32 v45, v44, v45
	v_sub_f32_e32 v19, v19, v45
	v_add_f32_e32 v45, v20, v44
	v_sub_f32_e32 v46, v45, v20
	v_sub_f32_e32 v54, v45, v46
	;; [unrolled: 1-line block ×5, first 2 shown]
	v_add_f32_e32 v20, v44, v20
	v_add_f32_e32 v44, v42, v19
	v_sub_f32_e32 v46, v44, v42
	v_sub_f32_e32 v54, v44, v46
	;; [unrolled: 1-line block ×4, first 2 shown]
	v_add_f32_e32 v20, v44, v20
	v_add_f32_e32 v19, v19, v42
	;; [unrolled: 1-line block ×3, first 2 shown]
	v_sub_f32_e32 v44, v42, v45
	v_sub_f32_e32 v20, v20, v44
	v_add_f32_e32 v19, v19, v20
	v_add_f32_e32 v19, v42, v19
	v_cmp_neq_f32_e64 s[0:1], s4, v23
	v_cndmask_b32_e64 v19, v32, v19, s[0:1]
	s_mov_b32 s0, 0x33800000
	v_cmp_gt_f32_e64 s[0:1], s0, v23
	v_cndmask_b32_e64 v23, v19, v23, s[0:1]
.LBB7_8:
	s_or_b64 exec, exec, s[2:3]
	s_ashr_i32 s26, s26, 2
	s_ashr_i32 s27, s26, 31
	s_lshl_b64 s[30:31], s[26:27], 2
	v_add_co_u32_e64 v19, s[0:1], s30, v39
	v_mov_b32_e32 v20, s31
	v_addc_co_u32_e64 v20, s[0:1], v40, v20, s[0:1]
	global_load_dword v32, v[19:20], off
	v_mov_b32_e32 v54, 0
	ds_read_b128 v[56:59], v54
	v_mul_f32_e32 v60, v23, v13
	s_mov_b32 s7, 0x3fb8aa3b
	v_mul_f32_e32 v61, v23, v14
	v_mul_f32_e32 v62, v23, v15
	v_mul_f32_e32 v64, 0x3fb8aa3b, v60
	s_mov_b32 s24, 0xc2ce8ed0
	s_mov_b32 s27, 0x42b17218
	v_mul_f32_e32 v63, v23, v16
	v_cmp_ngt_f32_e64 s[10:11], s24, v60
	v_cmp_nlt_f32_e64 s[4:5], s27, v60
	v_cmp_ngt_f32_e64 s[16:17], s24, v61
	v_cmp_nlt_f32_e64 s[14:15], s27, v61
	;; [unrolled: 2-line block ×4, first 2 shown]
	s_waitcnt vmcnt(0)
	v_mul_f32_e32 v55, v23, v32
	s_waitcnt lgkmcnt(0)
	v_mul_f32_e32 v46, v55, v56
	v_mul_f32_e32 v45, v55, v57
	;; [unrolled: 1-line block ×4, first 2 shown]
	v_fma_f32 v57, v60, s7, -v64
	v_mul_f32_e32 v44, v55, v58
	v_mul_f32_e32 v42, v55, v59
	v_fmac_f32_e32 v57, 0x32a5705f, v60
	v_fma_f32 v58, v61, s7, -v32
	v_fma_f32 v59, v62, s7, -v56
	v_mul_f32_e32 v60, 0x3fb8aa3b, v63
	v_fmac_f32_e32 v58, 0x32a5705f, v61
	v_fmac_f32_e32 v59, 0x32a5705f, v62
	v_fma_f32 v61, v63, s7, -v60
	v_rndne_f32_e32 v62, v64
	v_fmac_f32_e32 v61, 0x32a5705f, v63
	v_sub_f32_e32 v63, v64, v62
	v_add_f32_e32 v57, v63, v57
	v_rndne_f32_e32 v63, v32
	v_sub_f32_e32 v32, v32, v63
	v_cvt_i32_f32_e32 v62, v62
	v_exp_f32_e32 v57, v57
	v_add_f32_e32 v32, v32, v58
	v_rndne_f32_e32 v58, v56
	v_sub_f32_e32 v56, v56, v58
	v_add_f32_e32 v56, v56, v59
	v_ldexp_f32 v57, v57, v62
	v_cvt_i32_f32_e32 v62, v63
	v_exp_f32_e32 v32, v32
	v_cvt_i32_f32_e32 v58, v58
	v_exp_f32_e32 v56, v56
	v_rndne_f32_e32 v59, v60
	v_sub_f32_e32 v60, v60, v59
	v_add_f32_e32 v60, v60, v61
	v_ldexp_f32 v32, v32, v62
	v_ldexp_f32 v62, v56, v58
	v_cvt_i32_f32_e32 v56, v59
	v_exp_f32_e32 v58, v60
	v_cndmask_b32_e64 v57, 0, v57, s[10:11]
	v_mul_f32_e32 v61, v23, v9
	v_cndmask_b32_e64 v32, 0, v32, s[16:17]
	v_ldexp_f32 v63, v58, v56
	v_mov_b32_e32 v56, 0x7f800000
	v_cndmask_b32_e64 v57, v56, v57, s[4:5]
	v_fmac_f32_e32 v46, v49, v57
	ds_read_b128 v[57:60], v54 offset:64
	v_mul_f32_e32 v64, 0x3fb8aa3b, v61
	v_cndmask_b32_e64 v32, v56, v32, s[14:15]
	v_fma_f32 v65, v61, s7, -v64
	v_rndne_f32_e32 v66, v64
	v_fmac_f32_e32 v45, v50, v32
	v_cndmask_b32_e64 v49, 0, v62, s[2:3]
	v_cndmask_b32_e64 v50, 0, v63, s[12:13]
	v_fmac_f32_e32 v65, 0x32a5705f, v61
	v_sub_f32_e32 v64, v64, v66
	v_cndmask_b32_e64 v49, v56, v49, s[0:1]
	v_cndmask_b32_e64 v50, v56, v50, s[8:9]
	v_add_f32_e32 v64, v64, v65
	v_fmac_f32_e32 v44, v48, v49
	v_fmac_f32_e32 v42, v47, v50
	ds_read_b128 v[47:50], v54 offset:16
	s_waitcnt lgkmcnt(1)
	v_fma_f32 v57, v57, v46, 0
	v_exp_f32_e32 v32, v64
	v_fmac_f32_e32 v57, v58, v45
	v_cvt_i32_f32_e32 v58, v66
	v_fmac_f32_e32 v57, v59, v44
	v_cmp_ngt_f32_e64 s[0:1], s24, v61
	v_fmac_f32_e32 v57, v60, v42
	v_ldexp_f32 v32, v32, v58
	v_mul_f32_e32 v58, v23, v10
	v_mul_f32_e32 v59, 0x3fb8aa3b, v58
	v_cndmask_b32_e64 v32, 0, v32, s[0:1]
	v_cmp_nlt_f32_e64 s[0:1], s27, v61
	v_fma_f32 v60, v58, s7, -v59
	v_rndne_f32_e32 v61, v59
	v_fmac_f32_e32 v60, 0x32a5705f, v58
	v_sub_f32_e32 v59, v59, v61
	v_add_f32_e32 v59, v59, v60
	v_exp_f32_e32 v59, v59
	v_cvt_i32_f32_e32 v60, v61
	v_cndmask_b32_e64 v32, v56, v32, s[0:1]
	s_waitcnt lgkmcnt(0)
	v_mul_f32_e32 v47, v55, v47
	v_fmac_f32_e32 v47, v31, v32
	v_ldexp_f32 v31, v59, v60
	v_cmp_ngt_f32_e64 s[0:1], s24, v58
	v_cndmask_b32_e64 v31, 0, v31, s[0:1]
	v_cmp_nlt_f32_e64 s[0:1], s27, v58
	v_mul_f32_e32 v58, v23, v11
	v_mul_f32_e32 v32, 0x3fb8aa3b, v58
	v_fma_f32 v59, v58, s7, -v32
	v_rndne_f32_e32 v60, v32
	v_fmac_f32_e32 v59, 0x32a5705f, v58
	v_sub_f32_e32 v32, v32, v60
	v_add_f32_e32 v32, v32, v59
	v_exp_f32_e32 v59, v32
	v_cvt_i32_f32_e32 v60, v60
	v_cndmask_b32_e64 v31, v56, v31, s[0:1]
	v_mul_f32_e32 v32, v55, v48
	v_mul_f32_e32 v48, v23, v12
	v_fmac_f32_e32 v32, v51, v31
	v_ldexp_f32 v31, v59, v60
	v_cmp_ngt_f32_e64 s[0:1], s24, v58
	v_mul_f32_e32 v51, 0x3fb8aa3b, v48
	v_cndmask_b32_e64 v31, 0, v31, s[0:1]
	v_cmp_nlt_f32_e64 s[0:1], s27, v58
	v_fma_f32 v58, v48, s7, -v51
	v_rndne_f32_e32 v59, v51
	v_fmac_f32_e32 v58, 0x32a5705f, v48
	v_sub_f32_e32 v51, v51, v59
	v_add_f32_e32 v51, v51, v58
	v_exp_f32_e32 v51, v51
	v_cvt_i32_f32_e32 v58, v59
	v_cndmask_b32_e64 v59, v56, v31, s[0:1]
	v_mul_f32_e32 v31, v55, v49
	v_fmac_f32_e32 v31, v52, v59
	v_ldexp_f32 v49, v51, v58
	ds_read_b128 v[58:61], v54 offset:80
	v_cmp_ngt_f32_e64 s[0:1], s24, v48
	v_cndmask_b32_e64 v49, 0, v49, s[0:1]
	v_cmp_nlt_f32_e64 s[0:1], s27, v48
	v_mul_f32_e32 v48, v55, v50
	v_mul_f32_e32 v50, v23, v5
	;; [unrolled: 1-line block ×3, first 2 shown]
	s_waitcnt lgkmcnt(0)
	v_fmac_f32_e32 v57, v58, v47
	v_fma_f32 v52, v50, s7, -v51
	v_rndne_f32_e32 v58, v51
	v_fmac_f32_e32 v52, 0x32a5705f, v50
	v_sub_f32_e32 v51, v51, v58
	v_add_f32_e32 v51, v51, v52
	v_exp_f32_e32 v51, v51
	v_cvt_i32_f32_e32 v52, v58
	v_cndmask_b32_e64 v49, v56, v49, s[0:1]
	v_fmac_f32_e32 v48, v25, v49
	v_cmp_ngt_f32_e64 s[0:1], s24, v50
	v_ldexp_f32 v25, v51, v52
	v_mul_f32_e32 v49, v23, v6
	v_fmac_f32_e32 v57, v59, v32
	v_cndmask_b32_e64 v25, 0, v25, s[0:1]
	v_cmp_nlt_f32_e64 s[0:1], s27, v50
	v_mul_f32_e32 v50, 0x3fb8aa3b, v49
	v_fmac_f32_e32 v57, v60, v31
	v_fma_f32 v51, v49, s7, -v50
	v_rndne_f32_e32 v52, v50
	v_fmac_f32_e32 v57, v61, v48
	ds_read_b128 v[58:61], v54 offset:32
	ds_read_b128 v[62:65], v54 offset:96
	v_fmac_f32_e32 v51, 0x32a5705f, v49
	v_sub_f32_e32 v50, v50, v52
	v_add_f32_e32 v50, v50, v51
	v_exp_f32_e32 v50, v50
	v_cvt_i32_f32_e32 v51, v52
	v_cndmask_b32_e64 v25, v56, v25, s[0:1]
	s_waitcnt lgkmcnt(1)
	v_mul_f32_e32 v52, v55, v58
	v_fmac_f32_e32 v52, v28, v25
	v_ldexp_f32 v25, v50, v51
	v_cmp_ngt_f32_e64 s[0:1], s24, v49
	v_mul_f32_e32 v28, v23, v7
	v_cndmask_b32_e64 v25, 0, v25, s[0:1]
	v_cmp_nlt_f32_e64 s[0:1], s27, v49
	v_mul_f32_e32 v49, 0x3fb8aa3b, v28
	v_fma_f32 v50, v28, s7, -v49
	v_rndne_f32_e32 v51, v49
	v_fmac_f32_e32 v50, 0x32a5705f, v28
	v_sub_f32_e32 v49, v49, v51
	v_add_f32_e32 v49, v49, v50
	v_exp_f32_e32 v49, v49
	v_cvt_i32_f32_e32 v50, v51
	v_cndmask_b32_e64 v25, v56, v25, s[0:1]
	v_mul_f32_e32 v51, v55, v59
	v_fmac_f32_e32 v51, v43, v25
	v_ldexp_f32 v25, v49, v50
	v_cmp_ngt_f32_e64 s[0:1], s24, v28
	v_cndmask_b32_e64 v25, 0, v25, s[0:1]
	v_cmp_nlt_f32_e64 s[0:1], s27, v28
	v_mul_f32_e32 v28, v23, v8
	v_mul_f32_e32 v43, 0x3fb8aa3b, v28
	v_fma_f32 v49, v28, s7, -v43
	v_rndne_f32_e32 v50, v43
	v_fmac_f32_e32 v49, 0x32a5705f, v28
	v_sub_f32_e32 v43, v43, v50
	v_add_f32_e32 v43, v43, v49
	v_exp_f32_e32 v43, v43
	v_cvt_i32_f32_e32 v49, v50
	v_cndmask_b32_e64 v25, v56, v25, s[0:1]
	v_mul_f32_e32 v50, v55, v60
	v_fmac_f32_e32 v50, v27, v25
	v_ldexp_f32 v25, v43, v49
	v_mul_f32_e32 v43, v23, v1
	v_cmp_ngt_f32_e64 s[0:1], s24, v28
	v_mul_f32_e32 v27, 0x3fb8aa3b, v43
	v_cndmask_b32_e64 v25, 0, v25, s[0:1]
	v_cmp_nlt_f32_e64 s[0:1], s27, v28
	v_fma_f32 v28, v43, s7, -v27
	v_rndne_f32_e32 v58, v27
	v_fmac_f32_e32 v28, 0x32a5705f, v43
	v_sub_f32_e32 v27, v27, v58
	v_add_f32_e32 v27, v27, v28
	v_exp_f32_e32 v59, v27
	v_cvt_i32_f32_e32 v58, v58
	v_cndmask_b32_e64 v25, v56, v25, s[0:1]
	v_cmp_ngt_f32_e64 s[0:1], s24, v43
	v_mul_f32_e32 v49, v55, v61
	v_ldexp_f32 v58, v59, v58
	v_cndmask_b32_e64 v58, 0, v58, s[0:1]
	v_cmp_nlt_f32_e64 s[0:1], s27, v43
	v_mul_f32_e32 v43, v23, v2
	v_mul_f32_e32 v59, 0x3fb8aa3b, v43
	v_fma_f32 v60, v43, s7, -v59
	v_rndne_f32_e32 v61, v59
	v_fmac_f32_e32 v49, v26, v25
	ds_read_b128 v[25:28], v54 offset:48
	v_fmac_f32_e32 v60, 0x32a5705f, v43
	v_sub_f32_e32 v59, v59, v61
	v_add_f32_e32 v59, v59, v60
	v_exp_f32_e32 v59, v59
	v_cvt_i32_f32_e32 v60, v61
	s_waitcnt lgkmcnt(1)
	v_fmac_f32_e32 v57, v62, v52
	v_fmac_f32_e32 v57, v63, v51
	v_cndmask_b32_e64 v58, v56, v58, s[0:1]
	s_waitcnt lgkmcnt(0)
	v_mul_f32_e32 v63, v55, v25
	v_fmac_f32_e32 v63, v24, v58
	v_ldexp_f32 v24, v59, v60
	v_cmp_ngt_f32_e64 s[0:1], s24, v43
	v_mul_f32_e32 v25, v23, v3
	v_cndmask_b32_e64 v24, 0, v24, s[0:1]
	v_cmp_nlt_f32_e64 s[0:1], s27, v43
	v_mul_f32_e32 v43, 0x3fb8aa3b, v25
	v_fma_f32 v58, v25, s7, -v43
	v_rndne_f32_e32 v59, v43
	v_fmac_f32_e32 v58, 0x32a5705f, v25
	v_sub_f32_e32 v43, v43, v59
	v_add_f32_e32 v43, v43, v58
	v_fmac_f32_e32 v57, v64, v50
	v_exp_f32_e32 v62, v43
	v_cvt_i32_f32_e32 v64, v59
	v_cndmask_b32_e64 v24, v56, v24, s[0:1]
	v_mul_f32_e32 v43, v55, v26
	v_fmac_f32_e32 v43, v53, v24
	v_ldexp_f32 v24, v62, v64
	v_cmp_ngt_f32_e64 s[0:1], s24, v25
	v_cndmask_b32_e64 v24, 0, v24, s[0:1]
	v_cmp_nlt_f32_e64 s[0:1], s27, v25
	ds_read_b128 v[58:61], v54 offset:112
	v_cndmask_b32_e64 v24, v56, v24, s[0:1]
	v_mul_f32_e32 v54, v55, v27
	v_fmac_f32_e32 v54, v22, v24
	v_mul_f32_e32 v22, v23, v4
	v_mul_f32_e32 v23, 0x3fb8aa3b, v22
	v_fma_f32 v24, v22, s7, -v23
	v_rndne_f32_e32 v25, v23
	v_fmac_f32_e32 v24, 0x32a5705f, v22
	v_sub_f32_e32 v23, v23, v25
	v_add_f32_e32 v23, v23, v24
	v_exp_f32_e32 v23, v23
	v_cvt_i32_f32_e32 v24, v25
	v_fmac_f32_e32 v57, v65, v49
	v_cmp_ngt_f32_e64 s[0:1], s24, v22
	s_mov_b32 s2, 0
	v_ldexp_f32 v23, v23, v24
	s_mov_b32 s3, s38
	s_waitcnt lgkmcnt(0)
	v_fmac_f32_e32 v57, v58, v63
	v_cndmask_b32_e64 v23, 0, v23, s[0:1]
	v_cmp_nlt_f32_e64 s[0:1], s27, v22
	v_fmac_f32_e32 v57, v59, v43
	v_cndmask_b32_e64 v22, v56, v23, s[0:1]
	v_mul_f32_e32 v53, v55, v28
	s_ashr_i64 s[4:5], s[2:3], 30
	v_fmac_f32_e32 v57, v60, v54
	v_fmac_f32_e32 v53, v21, v22
	v_add_co_u32_e64 v21, s[0:1], s4, v29
	v_mov_b32_e32 v22, s5
	v_fmac_f32_e32 v57, v61, v53
	v_addc_co_u32_e64 v22, s[0:1], v30, v22, s[0:1]
	global_store_dword v[21:22], v57, off
	s_waitcnt vmcnt(0)
	s_barrier
	s_and_saveexec_b64 s[4:5], vcc
	s_cbranch_execz .LBB7_10
; %bb.9:
	s_lshl_b64 s[0:1], s[18:19], 3
	v_mov_b32_e32 v22, s1
	v_add_co_u32_e64 v21, s[0:1], s0, v35
	v_addc_co_u32_e64 v22, s[0:1], v36, v22, s[0:1]
	s_lshl_b64 s[0:1], s[20:21], 3
	global_load_dword v23, v[21:22], off
	v_mov_b32_e32 v22, s1
	v_add_co_u32_e64 v21, s[0:1], s0, v37
	v_addc_co_u32_e64 v22, s[0:1], v38, v22, s[0:1]
	global_load_dword v21, v[21:22], off
	s_waitcnt vmcnt(1)
	ds_write_b32 v0, v23
	s_waitcnt vmcnt(0)
	ds_write_b32 v41, v21
.LBB7_10:
	s_or_b64 exec, exec, s[4:5]
	v_mov_b32_e32 v21, s29
	v_add_co_u32_e64 v27, s[0:1], s28, v17
	v_addc_co_u32_e64 v28, s[0:1], v18, v21, s[0:1]
	s_waitcnt lgkmcnt(0)
	s_barrier
	global_load_dword v65, v[27:28], off
	s_mov_b32 s0, 0x41a00000
	s_waitcnt vmcnt(0)
	v_cmp_ge_f32_e64 s[0:1], s0, v65
	s_and_saveexec_b64 s[4:5], s[0:1]
	s_cbranch_execz .LBB7_12
; %bb.11:
	v_mul_f32_e32 v17, 0x3fb8aa3b, v65
	s_mov_b32 s0, 0x3fb8aa3b
	v_rndne_f32_e32 v18, v17
	v_sub_f32_e32 v21, v17, v18
	v_fma_f32 v17, v65, s0, -v17
	v_fmac_f32_e32 v17, 0x32a5705f, v65
	v_add_f32_e32 v17, v21, v17
	v_exp_f32_e32 v17, v17
	v_cvt_i32_f32_e32 v18, v18
	s_mov_b32 s0, 0xc2ce8ed0
	v_cmp_ngt_f32_e64 s[0:1], s0, v65
	v_mov_b32_e32 v21, 0x7f800000
	v_ldexp_f32 v17, v17, v18
	v_cndmask_b32_e64 v17, 0, v17, s[0:1]
	s_mov_b32 s0, 0x42b17218
	v_cmp_nlt_f32_e64 s[0:1], s0, v65
	v_cndmask_b32_e64 v22, v21, v17, s[0:1]
	v_add_f32_e32 v23, 1.0, v22
	v_cvt_f64_f32_e32 v[17:18], v23
	v_add_f32_e32 v24, -1.0, v23
	v_sub_f32_e32 v25, v24, v23
	v_sub_f32_e32 v24, v22, v24
	v_frexp_exp_i32_f64_e32 v17, v[17:18]
	v_add_f32_e32 v18, 1.0, v25
	v_add_f32_e32 v18, v24, v18
	v_frexp_mant_f32_e32 v24, v23
	s_mov_b32 s0, 0x3f2aaaab
	v_cmp_gt_f32_e64 s[0:1], s0, v24
	s_mov_b32 s7, 0x7f800000
	v_subbrev_co_u32_e64 v17, s[0:1], 0, v17, s[0:1]
	v_sub_u32_e32 v24, 0, v17
	v_ldexp_f32 v23, v23, v24
	v_ldexp_f32 v18, v18, v24
	v_add_f32_e32 v24, -1.0, v23
	v_add_f32_e32 v55, 1.0, v23
	v_add_f32_e32 v25, 1.0, v24
	v_add_f32_e32 v56, -1.0, v55
	v_sub_f32_e32 v25, v23, v25
	v_sub_f32_e32 v23, v23, v56
	v_add_f32_e32 v25, v18, v25
	v_add_f32_e32 v18, v18, v23
	;; [unrolled: 1-line block ×3, first 2 shown]
	v_rcp_f32_e32 v56, v23
	v_add_f32_e32 v26, v24, v25
	v_sub_f32_e32 v24, v24, v26
	v_add_f32_e32 v24, v25, v24
	v_sub_f32_e32 v25, v55, v23
	v_add_f32_e32 v18, v18, v25
	v_mul_f32_e32 v25, v26, v56
	v_mul_f32_e32 v55, v23, v25
	v_fma_f32 v57, v25, v23, -v55
	v_fmac_f32_e32 v57, v25, v18
	v_add_f32_e32 v58, v55, v57
	v_sub_f32_e32 v59, v26, v58
	v_sub_f32_e32 v26, v26, v59
	;; [unrolled: 1-line block ×4, first 2 shown]
	v_add_f32_e32 v24, v24, v26
	v_sub_f32_e32 v26, v55, v57
	v_add_f32_e32 v24, v26, v24
	v_add_f32_e32 v26, v59, v24
	v_mul_f32_e32 v55, v56, v26
	v_mul_f32_e32 v57, v23, v55
	v_fma_f32 v23, v55, v23, -v57
	v_fmac_f32_e32 v23, v55, v18
	v_sub_f32_e32 v18, v59, v26
	v_add_f32_e32 v18, v24, v18
	v_add_f32_e32 v24, v57, v23
	v_sub_f32_e32 v58, v26, v24
	v_sub_f32_e32 v26, v26, v58
	;; [unrolled: 1-line block ×4, first 2 shown]
	v_add_f32_e32 v18, v18, v24
	v_sub_f32_e32 v23, v57, v23
	v_add_f32_e32 v18, v23, v18
	v_add_f32_e32 v23, v25, v55
	;; [unrolled: 1-line block ×3, first 2 shown]
	v_sub_f32_e32 v24, v23, v25
	v_mul_f32_e32 v18, v56, v18
	v_sub_f32_e32 v24, v55, v24
	v_add_f32_e32 v18, v24, v18
	v_cvt_f32_i32_e32 v17, v17
	v_add_f32_e32 v24, v23, v18
	v_mul_f32_e32 v25, v24, v24
	v_mov_b32_e32 v26, 0x3ecc95a3
	v_fmac_f32_e32 v26, 0x3e9b6dac, v25
	v_mov_b32_e32 v55, 0x3f2aaada
	v_fmac_f32_e32 v55, v25, v26
	s_mov_b32 s0, 0x3f317218
	v_mul_f32_e32 v26, 0x3f317218, v17
	v_fma_f32 v56, v17, s0, -v26
	v_fmac_f32_e32 v56, 0xb102e308, v17
	v_sub_f32_e32 v17, v24, v23
	v_sub_f32_e32 v17, v18, v17
	v_add_f32_e32 v18, v26, v56
	v_sub_f32_e32 v23, v18, v26
	v_ldexp_f32 v26, v24, 1
	v_mul_f32_e32 v24, v24, v25
	v_mul_f32_e32 v24, v24, v55
	v_add_f32_e32 v25, v26, v24
	v_sub_f32_e32 v26, v25, v26
	v_ldexp_f32 v17, v17, 1
	v_sub_f32_e32 v24, v24, v26
	v_add_f32_e32 v17, v17, v24
	v_add_f32_e32 v24, v25, v17
	v_sub_f32_e32 v25, v24, v25
	v_sub_f32_e32 v17, v17, v25
	v_add_f32_e32 v25, v18, v24
	v_sub_f32_e32 v26, v25, v18
	v_sub_f32_e32 v55, v25, v26
	;; [unrolled: 1-line block ×5, first 2 shown]
	v_add_f32_e32 v18, v24, v18
	v_add_f32_e32 v24, v23, v17
	v_sub_f32_e32 v26, v24, v23
	v_sub_f32_e32 v55, v24, v26
	;; [unrolled: 1-line block ×4, first 2 shown]
	v_add_f32_e32 v18, v24, v18
	v_add_f32_e32 v17, v17, v23
	;; [unrolled: 1-line block ×3, first 2 shown]
	v_sub_f32_e32 v24, v23, v25
	v_sub_f32_e32 v18, v18, v24
	v_add_f32_e32 v17, v17, v18
	v_add_f32_e32 v17, v23, v17
	v_cmp_neq_f32_e64 s[0:1], s7, v22
	v_cndmask_b32_e64 v17, v21, v17, s[0:1]
	s_mov_b32 s0, 0x33800000
	v_cmp_gt_f32_e64 s[0:1], s0, v22
	v_cndmask_b32_e64 v65, v17, v22, s[0:1]
.LBB7_12:
	s_or_b64 exec, exec, s[4:5]
	v_add_co_u32_e64 v25, s[0:1], s30, v19
	v_mov_b32_e32 v17, s31
	v_addc_co_u32_e64 v26, s[0:1], v20, v17, s[0:1]
	global_load_dword v17, v[25:26], off
	s_mov_b32 s4, 0x3fb8aa3b
	s_mov_b32 s5, 0xc2ce8ed0
	;; [unrolled: 1-line block ×3, first 2 shown]
	v_mov_b32_e32 v68, 0x7f800000
	v_mov_b32_e32 v64, 0
	s_waitcnt vmcnt(0)
	v_mul_f32_e32 v66, v65, v17
	v_mul_f32_e32 v17, v65, v13
	;; [unrolled: 1-line block ×3, first 2 shown]
	v_fma_f32 v19, v17, s4, -v18
	v_rndne_f32_e32 v20, v18
	v_fmac_f32_e32 v19, 0x32a5705f, v17
	v_sub_f32_e32 v18, v18, v20
	v_add_f32_e32 v18, v18, v19
	v_exp_f32_e32 v18, v18
	v_cvt_i32_f32_e32 v19, v20
	v_cmp_ngt_f32_e64 s[0:1], s5, v17
	v_ldexp_f32 v18, v18, v19
	v_cndmask_b32_e64 v18, 0, v18, s[0:1]
	v_cmp_nlt_f32_e64 s[0:1], s7, v17
	v_cndmask_b32_e64 v67, v68, v18, s[0:1]
	ds_read_b128 v[55:58], v64
	ds_read_b128 v[59:62], v64 offset:16
	ds_read_b128 v[21:24], v64 offset:32
	;; [unrolled: 1-line block ×4, first 2 shown]
	s_waitcnt lgkmcnt(4)
	v_mul_f32_e32 v55, v66, v55
	v_fmac_f32_e32 v55, v46, v67
	v_mul_f32_e32 v46, v65, v14
	v_cmp_ngt_f32_e64 s[0:1], s5, v46
	s_waitcnt lgkmcnt(0)
	v_fma_f32 v67, v69, v55, 0
	v_mul_f32_e32 v69, 0x3fb8aa3b, v46
	v_fma_f32 v73, v46, s4, -v69
	v_rndne_f32_e32 v74, v69
	v_fmac_f32_e32 v73, 0x32a5705f, v46
	v_sub_f32_e32 v69, v69, v74
	v_add_f32_e32 v69, v69, v73
	v_exp_f32_e32 v69, v69
	v_cvt_i32_f32_e32 v73, v74
	v_ldexp_f32 v69, v69, v73
	v_cndmask_b32_e64 v69, 0, v69, s[0:1]
	v_cmp_nlt_f32_e64 s[0:1], s7, v46
	v_cndmask_b32_e64 v69, v68, v69, s[0:1]
	v_mul_f32_e32 v46, v66, v56
	v_fmac_f32_e32 v46, v45, v69
	v_mul_f32_e32 v45, v65, v15
	v_mul_f32_e32 v56, 0x3fb8aa3b, v45
	v_fmac_f32_e32 v67, v70, v46
	v_fma_f32 v69, v45, s4, -v56
	v_rndne_f32_e32 v70, v56
	v_fmac_f32_e32 v69, 0x32a5705f, v45
	v_sub_f32_e32 v56, v56, v70
	v_add_f32_e32 v56, v56, v69
	v_exp_f32_e32 v56, v56
	v_cvt_i32_f32_e32 v69, v70
	v_cmp_ngt_f32_e64 s[0:1], s5, v45
	v_ldexp_f32 v56, v56, v69
	v_cndmask_b32_e64 v56, 0, v56, s[0:1]
	v_cmp_nlt_f32_e64 s[0:1], s7, v45
	v_cndmask_b32_e64 v56, v68, v56, s[0:1]
	v_mul_f32_e32 v45, v66, v57
	v_fmac_f32_e32 v45, v44, v56
	v_mul_f32_e32 v44, v65, v16
	v_mul_f32_e32 v56, 0x3fb8aa3b, v44
	v_fma_f32 v57, v44, s4, -v56
	v_rndne_f32_e32 v69, v56
	v_fmac_f32_e32 v57, 0x32a5705f, v44
	v_sub_f32_e32 v56, v56, v69
	v_add_f32_e32 v56, v56, v57
	v_exp_f32_e32 v56, v56
	v_cvt_i32_f32_e32 v57, v69
	v_cmp_ngt_f32_e64 s[0:1], s5, v44
	v_fmac_f32_e32 v67, v71, v45
	v_ldexp_f32 v56, v56, v57
	v_cndmask_b32_e64 v56, 0, v56, s[0:1]
	v_cmp_nlt_f32_e64 s[0:1], s7, v44
	v_cndmask_b32_e64 v44, v68, v56, s[0:1]
	v_mul_f32_e32 v56, v66, v58
	v_fmac_f32_e32 v56, v42, v44
	v_mul_f32_e32 v42, v65, v9
	v_mul_f32_e32 v44, 0x3fb8aa3b, v42
	v_fma_f32 v57, v42, s4, -v44
	v_rndne_f32_e32 v58, v44
	v_fmac_f32_e32 v57, 0x32a5705f, v42
	v_sub_f32_e32 v44, v44, v58
	v_add_f32_e32 v44, v44, v57
	v_exp_f32_e32 v44, v44
	v_cvt_i32_f32_e32 v57, v58
	v_cmp_ngt_f32_e64 s[0:1], s5, v42
	v_fmac_f32_e32 v67, v72, v56
	ds_read_b128 v[69:72], v64 offset:80
	v_ldexp_f32 v44, v44, v57
	v_cndmask_b32_e64 v44, 0, v44, s[0:1]
	v_cmp_nlt_f32_e64 s[0:1], s7, v42
	v_cndmask_b32_e64 v42, v68, v44, s[0:1]
	v_mul_f32_e32 v57, v66, v59
	v_fmac_f32_e32 v57, v47, v42
	v_mul_f32_e32 v42, v65, v10
	v_mul_f32_e32 v44, 0x3fb8aa3b, v42
	v_fma_f32 v47, v42, s4, -v44
	v_rndne_f32_e32 v58, v44
	v_fmac_f32_e32 v47, 0x32a5705f, v42
	v_sub_f32_e32 v44, v44, v58
	v_add_f32_e32 v44, v44, v47
	v_exp_f32_e32 v44, v44
	v_cvt_i32_f32_e32 v47, v58
	v_cmp_ngt_f32_e64 s[0:1], s5, v42
	v_mul_f32_e32 v59, v66, v21
	v_mul_f32_e32 v21, v65, v6
	v_ldexp_f32 v44, v44, v47
	v_cndmask_b32_e64 v44, 0, v44, s[0:1]
	v_cmp_nlt_f32_e64 s[0:1], s7, v42
	v_cndmask_b32_e64 v42, v68, v44, s[0:1]
	v_mul_f32_e32 v47, v66, v60
	v_fmac_f32_e32 v47, v32, v42
	v_mul_f32_e32 v32, v65, v11
	v_mul_f32_e32 v42, 0x3fb8aa3b, v32
	v_fma_f32 v44, v32, s4, -v42
	v_rndne_f32_e32 v58, v42
	v_fmac_f32_e32 v44, 0x32a5705f, v32
	v_sub_f32_e32 v42, v42, v58
	v_add_f32_e32 v42, v42, v44
	v_exp_f32_e32 v42, v42
	v_cvt_i32_f32_e32 v44, v58
	v_cmp_ngt_f32_e64 s[0:1], s5, v32
	v_mul_f32_e32 v60, v66, v23
	v_ldexp_f32 v42, v42, v44
	v_cndmask_b32_e64 v42, 0, v42, s[0:1]
	v_cmp_nlt_f32_e64 s[0:1], s7, v32
	v_cndmask_b32_e64 v42, v68, v42, s[0:1]
	v_mul_f32_e32 v32, v66, v61
	v_fmac_f32_e32 v32, v31, v42
	v_mul_f32_e32 v31, v65, v12
	v_mul_f32_e32 v42, 0x3fb8aa3b, v31
	v_fma_f32 v44, v31, s4, -v42
	v_rndne_f32_e32 v58, v42
	v_fmac_f32_e32 v44, 0x32a5705f, v31
	v_sub_f32_e32 v42, v42, v58
	v_add_f32_e32 v42, v42, v44
	v_exp_f32_e32 v42, v42
	v_cvt_i32_f32_e32 v44, v58
	v_cmp_ngt_f32_e64 s[0:1], s5, v31
	v_mul_f32_e32 v58, v66, v62
	v_mul_f32_e32 v61, v66, v24
	v_ldexp_f32 v42, v42, v44
	v_cndmask_b32_e64 v42, 0, v42, s[0:1]
	v_cmp_nlt_f32_e64 s[0:1], s7, v31
	v_cndmask_b32_e64 v31, v68, v42, s[0:1]
	v_fmac_f32_e32 v58, v48, v31
	v_mul_f32_e32 v31, v65, v5
	v_mul_f32_e32 v42, 0x3fb8aa3b, v31
	v_fma_f32 v44, v31, s4, -v42
	v_rndne_f32_e32 v48, v42
	v_fmac_f32_e32 v44, 0x32a5705f, v31
	v_sub_f32_e32 v42, v42, v48
	v_add_f32_e32 v42, v42, v44
	v_exp_f32_e32 v42, v42
	v_cvt_i32_f32_e32 v44, v48
	v_cmp_ngt_f32_e64 s[0:1], s5, v31
	v_mul_f32_e32 v62, v66, v17
	v_mul_f32_e32 v17, v65, v2
	v_ldexp_f32 v42, v42, v44
	v_cndmask_b32_e64 v42, 0, v42, s[0:1]
	v_cmp_nlt_f32_e64 s[0:1], s7, v31
	v_cndmask_b32_e64 v31, v68, v42, s[0:1]
	v_fmac_f32_e32 v59, v52, v31
	v_mul_f32_e32 v31, 0x3fb8aa3b, v21
	v_fma_f32 v42, v21, s4, -v31
	v_rndne_f32_e32 v44, v31
	v_fmac_f32_e32 v42, 0x32a5705f, v21
	v_sub_f32_e32 v31, v31, v44
	v_add_f32_e32 v31, v31, v42
	v_exp_f32_e32 v31, v31
	v_cvt_i32_f32_e32 v42, v44
	v_cmp_ngt_f32_e64 s[0:1], s5, v21
	v_mul_f32_e32 v52, v66, v22
	v_ldexp_f32 v31, v31, v42
	v_cndmask_b32_e64 v31, 0, v31, s[0:1]
	v_cmp_nlt_f32_e64 s[0:1], s7, v21
	v_cndmask_b32_e64 v21, v68, v31, s[0:1]
	v_fmac_f32_e32 v52, v51, v21
	v_mul_f32_e32 v21, v65, v7
	v_mul_f32_e32 v22, 0x3fb8aa3b, v21
	v_fma_f32 v31, v21, s4, -v22
	v_rndne_f32_e32 v42, v22
	v_fmac_f32_e32 v31, 0x32a5705f, v21
	v_sub_f32_e32 v22, v22, v42
	v_add_f32_e32 v22, v22, v31
	v_exp_f32_e32 v22, v22
	v_cvt_i32_f32_e32 v31, v42
	v_cmp_ngt_f32_e64 s[0:1], s5, v21
	v_ldexp_f32 v22, v22, v31
	v_cndmask_b32_e64 v22, 0, v22, s[0:1]
	v_cmp_nlt_f32_e64 s[0:1], s7, v21
	v_cndmask_b32_e64 v21, v68, v22, s[0:1]
	v_fmac_f32_e32 v60, v50, v21
	v_mul_f32_e32 v21, v65, v8
	v_mul_f32_e32 v22, 0x3fb8aa3b, v21
	v_fma_f32 v23, v21, s4, -v22
	v_rndne_f32_e32 v31, v22
	v_fmac_f32_e32 v23, 0x32a5705f, v21
	v_sub_f32_e32 v22, v22, v31
	v_add_f32_e32 v22, v22, v23
	v_exp_f32_e32 v22, v22
	v_cvt_i32_f32_e32 v23, v31
	v_cmp_ngt_f32_e64 s[0:1], s5, v21
	;; [unrolled: 15-line block ×3, first 2 shown]
	v_ldexp_f32 v22, v22, v23
	v_cndmask_b32_e64 v22, 0, v22, s[0:1]
	v_cmp_nlt_f32_e64 s[0:1], s7, v21
	v_cndmask_b32_e64 v21, v68, v22, s[0:1]
	v_fmac_f32_e32 v62, v63, v21
	ds_read_b128 v[21:24], v64 offset:112
	s_waitcnt lgkmcnt(1)
	v_fmac_f32_e32 v67, v69, v57
	v_fmac_f32_e32 v67, v70, v47
	v_fmac_f32_e32 v67, v71, v32
	v_fmac_f32_e32 v67, v72, v58
	ds_read_b128 v[69:72], v64 offset:96
	v_cmp_ngt_f32_e64 s[0:1], s5, v17
	v_mul_f32_e32 v63, v66, v18
	v_mul_f32_e32 v64, v66, v19
	s_waitcnt lgkmcnt(0)
	v_fmac_f32_e32 v67, v69, v59
	v_fmac_f32_e32 v67, v70, v52
	;; [unrolled: 1-line block ×5, first 2 shown]
	v_mul_f32_e32 v21, 0x3fb8aa3b, v17
	v_fma_f32 v31, v17, s4, -v21
	v_rndne_f32_e32 v42, v21
	v_fmac_f32_e32 v31, 0x32a5705f, v17
	v_sub_f32_e32 v21, v21, v42
	v_add_f32_e32 v21, v21, v31
	v_exp_f32_e32 v21, v21
	v_cvt_i32_f32_e32 v31, v42
	v_ldexp_f32 v21, v21, v31
	v_cndmask_b32_e64 v21, 0, v21, s[0:1]
	v_cmp_nlt_f32_e64 s[0:1], s7, v17
	v_cndmask_b32_e64 v17, v68, v21, s[0:1]
	v_fmac_f32_e32 v63, v43, v17
	v_mul_f32_e32 v17, v65, v3
	v_mul_f32_e32 v18, 0x3fb8aa3b, v17
	v_fmac_f32_e32 v67, v22, v63
	v_fma_f32 v21, v17, s4, -v18
	v_rndne_f32_e32 v22, v18
	v_fmac_f32_e32 v21, 0x32a5705f, v17
	v_sub_f32_e32 v18, v18, v22
	v_add_f32_e32 v18, v18, v21
	v_exp_f32_e32 v18, v18
	v_cvt_i32_f32_e32 v21, v22
	v_cmp_ngt_f32_e64 s[0:1], s5, v17
	v_ldexp_f32 v18, v18, v21
	v_cndmask_b32_e64 v18, 0, v18, s[0:1]
	v_cmp_nlt_f32_e64 s[0:1], s7, v17
	v_cndmask_b32_e64 v17, v68, v18, s[0:1]
	v_fmac_f32_e32 v64, v54, v17
	v_mul_f32_e32 v17, v65, v4
	v_mul_f32_e32 v18, 0x3fb8aa3b, v17
	v_fma_f32 v19, v17, s4, -v18
	v_rndne_f32_e32 v21, v18
	v_fmac_f32_e32 v19, 0x32a5705f, v17
	v_sub_f32_e32 v18, v18, v21
	v_add_f32_e32 v18, v18, v19
	v_exp_f32_e32 v18, v18
	v_cvt_i32_f32_e32 v19, v21
	v_cmp_ngt_f32_e64 s[0:1], s5, v17
	v_mul_f32_e32 v65, v66, v20
	s_ashr_i64 s[4:5], s[2:3], 29
	v_ldexp_f32 v18, v18, v19
	v_cndmask_b32_e64 v18, 0, v18, s[0:1]
	v_cmp_nlt_f32_e64 s[0:1], s7, v17
	v_cndmask_b32_e64 v17, v68, v18, s[0:1]
	v_fmac_f32_e32 v67, v23, v64
	v_fmac_f32_e32 v65, v53, v17
	v_add_co_u32_e64 v17, s[0:1], s4, v29
	v_mov_b32_e32 v18, s5
	v_fmac_f32_e32 v67, v24, v65
	v_addc_co_u32_e64 v18, s[0:1], v30, v18, s[0:1]
	global_store_dword v[17:18], v67, off
	s_waitcnt vmcnt(0)
	s_barrier
	s_and_saveexec_b64 s[0:1], vcc
	s_cbranch_execz .LBB7_14
; %bb.13:
	v_mad_i64_i32 v[17:18], s[4:5], s18, 12, v[35:36]
	v_mad_i64_i32 v[19:20], s[4:5], s20, 12, v[37:38]
	global_load_dword v21, v[17:18], off
	global_load_dword v22, v[19:20], off
	s_waitcnt vmcnt(1)
	ds_write_b32 v0, v21
	s_waitcnt vmcnt(0)
	ds_write_b32 v41, v22
.LBB7_14:
	s_or_b64 exec, exec, s[0:1]
	v_mov_b32_e32 v17, s29
	v_add_co_u32_e64 v27, s[0:1], s28, v27
	v_addc_co_u32_e64 v28, s[0:1], v28, v17, s[0:1]
	s_waitcnt lgkmcnt(0)
	s_barrier
	global_load_dword v66, v[27:28], off
	s_mov_b32 s0, 0x41a00000
	s_bfe_i64 s[4:5], s[38:39], 0x200000
	s_waitcnt vmcnt(0)
	v_cmp_ge_f32_e64 s[0:1], s0, v66
	s_and_saveexec_b64 s[8:9], s[0:1]
	s_cbranch_execz .LBB7_16
; %bb.15:
	v_mul_f32_e32 v17, 0x3fb8aa3b, v66
	s_mov_b32 s0, 0x3fb8aa3b
	v_rndne_f32_e32 v18, v17
	v_sub_f32_e32 v19, v17, v18
	v_fma_f32 v17, v66, s0, -v17
	v_fmac_f32_e32 v17, 0x32a5705f, v66
	v_add_f32_e32 v17, v19, v17
	v_exp_f32_e32 v17, v17
	v_cvt_i32_f32_e32 v18, v18
	s_mov_b32 s0, 0xc2ce8ed0
	v_cmp_ngt_f32_e64 s[0:1], s0, v66
	v_mov_b32_e32 v19, 0x7f800000
	v_ldexp_f32 v17, v17, v18
	v_cndmask_b32_e64 v17, 0, v17, s[0:1]
	s_mov_b32 s0, 0x42b17218
	v_cmp_nlt_f32_e64 s[0:1], s0, v66
	v_cndmask_b32_e64 v20, v19, v17, s[0:1]
	v_add_f32_e32 v21, 1.0, v20
	v_cvt_f64_f32_e32 v[17:18], v21
	v_add_f32_e32 v22, -1.0, v21
	v_sub_f32_e32 v23, v22, v21
	v_sub_f32_e32 v22, v20, v22
	v_frexp_exp_i32_f64_e32 v17, v[17:18]
	v_add_f32_e32 v18, 1.0, v23
	v_add_f32_e32 v18, v22, v18
	v_frexp_mant_f32_e32 v22, v21
	s_mov_b32 s0, 0x3f2aaaab
	v_cmp_gt_f32_e64 s[0:1], s0, v22
	s_mov_b32 s5, 0x7f800000
	v_subbrev_co_u32_e64 v17, s[0:1], 0, v17, s[0:1]
	v_sub_u32_e32 v22, 0, v17
	v_ldexp_f32 v21, v21, v22
	v_ldexp_f32 v18, v18, v22
	v_add_f32_e32 v22, -1.0, v21
	v_add_f32_e32 v31, 1.0, v21
	v_add_f32_e32 v23, 1.0, v22
	v_add_f32_e32 v42, -1.0, v31
	v_sub_f32_e32 v23, v21, v23
	v_sub_f32_e32 v21, v21, v42
	v_add_f32_e32 v23, v18, v23
	v_add_f32_e32 v18, v18, v21
	;; [unrolled: 1-line block ×3, first 2 shown]
	v_rcp_f32_e32 v42, v21
	v_add_f32_e32 v24, v22, v23
	v_sub_f32_e32 v22, v22, v24
	v_add_f32_e32 v22, v23, v22
	v_sub_f32_e32 v23, v31, v21
	v_add_f32_e32 v18, v18, v23
	v_mul_f32_e32 v23, v24, v42
	v_mul_f32_e32 v31, v21, v23
	v_fma_f32 v43, v23, v21, -v31
	v_fmac_f32_e32 v43, v23, v18
	v_add_f32_e32 v44, v31, v43
	v_sub_f32_e32 v48, v24, v44
	v_sub_f32_e32 v24, v24, v48
	;; [unrolled: 1-line block ×4, first 2 shown]
	v_add_f32_e32 v22, v22, v24
	v_sub_f32_e32 v24, v31, v43
	v_add_f32_e32 v22, v24, v22
	v_add_f32_e32 v24, v48, v22
	v_mul_f32_e32 v31, v42, v24
	v_mul_f32_e32 v43, v21, v31
	v_fma_f32 v21, v31, v21, -v43
	v_fmac_f32_e32 v21, v31, v18
	v_sub_f32_e32 v18, v48, v24
	v_add_f32_e32 v18, v22, v18
	v_add_f32_e32 v22, v43, v21
	v_sub_f32_e32 v44, v24, v22
	v_sub_f32_e32 v24, v24, v44
	;; [unrolled: 1-line block ×4, first 2 shown]
	v_add_f32_e32 v18, v18, v22
	v_sub_f32_e32 v21, v43, v21
	v_add_f32_e32 v18, v21, v18
	v_add_f32_e32 v21, v23, v31
	;; [unrolled: 1-line block ×3, first 2 shown]
	v_sub_f32_e32 v22, v21, v23
	v_mul_f32_e32 v18, v42, v18
	v_sub_f32_e32 v22, v31, v22
	v_add_f32_e32 v18, v22, v18
	v_cvt_f32_i32_e32 v17, v17
	v_add_f32_e32 v22, v21, v18
	v_mul_f32_e32 v23, v22, v22
	v_mov_b32_e32 v24, 0x3ecc95a3
	v_fmac_f32_e32 v24, 0x3e9b6dac, v23
	v_mov_b32_e32 v31, 0x3f2aaada
	v_fmac_f32_e32 v31, v23, v24
	s_mov_b32 s0, 0x3f317218
	v_mul_f32_e32 v24, 0x3f317218, v17
	v_fma_f32 v42, v17, s0, -v24
	v_fmac_f32_e32 v42, 0xb102e308, v17
	v_sub_f32_e32 v17, v22, v21
	v_sub_f32_e32 v17, v18, v17
	v_add_f32_e32 v18, v24, v42
	v_sub_f32_e32 v21, v18, v24
	v_ldexp_f32 v24, v22, 1
	v_mul_f32_e32 v22, v22, v23
	v_mul_f32_e32 v22, v22, v31
	v_add_f32_e32 v23, v24, v22
	v_sub_f32_e32 v24, v23, v24
	v_ldexp_f32 v17, v17, 1
	v_sub_f32_e32 v22, v22, v24
	v_add_f32_e32 v17, v17, v22
	v_add_f32_e32 v22, v23, v17
	v_sub_f32_e32 v23, v22, v23
	v_sub_f32_e32 v17, v17, v23
	v_add_f32_e32 v23, v18, v22
	v_sub_f32_e32 v24, v23, v18
	v_sub_f32_e32 v31, v23, v24
	;; [unrolled: 1-line block ×5, first 2 shown]
	v_add_f32_e32 v18, v22, v18
	v_add_f32_e32 v22, v21, v17
	v_sub_f32_e32 v24, v22, v21
	v_sub_f32_e32 v31, v22, v24
	;; [unrolled: 1-line block ×4, first 2 shown]
	v_add_f32_e32 v18, v22, v18
	v_add_f32_e32 v17, v17, v21
	;; [unrolled: 1-line block ×3, first 2 shown]
	v_sub_f32_e32 v22, v21, v23
	v_sub_f32_e32 v18, v18, v22
	v_add_f32_e32 v17, v17, v18
	v_add_f32_e32 v17, v21, v17
	v_cmp_neq_f32_e64 s[0:1], s5, v20
	v_cndmask_b32_e64 v17, v19, v17, s[0:1]
	s_mov_b32 s0, 0x33800000
	v_cmp_gt_f32_e64 s[0:1], s0, v20
	v_cndmask_b32_e64 v66, v17, v20, s[0:1]
.LBB7_16:
	s_or_b64 exec, exec, s[8:9]
	v_add_co_u32_e64 v25, s[0:1], s30, v25
	v_mov_b32_e32 v17, s31
	v_addc_co_u32_e64 v26, s[0:1], v26, v17, s[0:1]
	global_load_dword v17, v[25:26], off
	s_mov_b32 s5, 0x3fb8aa3b
	s_mov_b32 s7, 0xc2ce8ed0
	;; [unrolled: 1-line block ×3, first 2 shown]
	v_mov_b32_e32 v69, 0x7f800000
	v_mov_b32_e32 v54, 0
	s_waitcnt vmcnt(0)
	v_mul_f32_e32 v67, v66, v17
	v_mul_f32_e32 v17, v66, v13
	;; [unrolled: 1-line block ×3, first 2 shown]
	v_fma_f32 v19, v17, s5, -v18
	v_rndne_f32_e32 v20, v18
	v_fmac_f32_e32 v19, 0x32a5705f, v17
	v_sub_f32_e32 v18, v18, v20
	v_add_f32_e32 v18, v18, v19
	v_exp_f32_e32 v18, v18
	v_cvt_i32_f32_e32 v19, v20
	v_cmp_ngt_f32_e64 s[0:1], s7, v17
	v_ldexp_f32 v18, v18, v19
	v_cndmask_b32_e64 v18, 0, v18, s[0:1]
	v_cmp_nlt_f32_e64 s[0:1], s8, v17
	v_cndmask_b32_e64 v42, v69, v18, s[0:1]
	ds_read_b128 v[48:51], v54
	ds_read_b128 v[70:73], v54 offset:16
	ds_read_b128 v[21:24], v54 offset:32
	;; [unrolled: 1-line block ×4, first 2 shown]
	s_waitcnt lgkmcnt(4)
	v_mul_f32_e32 v31, v67, v48
	v_fmac_f32_e32 v31, v55, v42
	v_mul_f32_e32 v42, v66, v14
	v_mul_f32_e32 v43, 0x3fb8aa3b, v42
	v_fma_f32 v44, v42, s5, -v43
	v_rndne_f32_e32 v48, v43
	v_fmac_f32_e32 v44, 0x32a5705f, v42
	v_sub_f32_e32 v43, v43, v48
	v_add_f32_e32 v43, v43, v44
	v_exp_f32_e32 v43, v43
	v_cvt_i32_f32_e32 v44, v48
	v_cmp_ngt_f32_e64 s[0:1], s7, v42
	v_ldexp_f32 v43, v43, v44
	v_cndmask_b32_e64 v43, 0, v43, s[0:1]
	v_cmp_nlt_f32_e64 s[0:1], s8, v42
	v_cndmask_b32_e64 v43, v69, v43, s[0:1]
	v_mul_f32_e32 v42, v67, v49
	v_fmac_f32_e32 v42, v46, v43
	v_mul_f32_e32 v43, v66, v15
	v_mul_f32_e32 v44, 0x3fb8aa3b, v43
	v_fma_f32 v46, v43, s5, -v44
	v_rndne_f32_e32 v48, v44
	v_fmac_f32_e32 v46, 0x32a5705f, v43
	v_sub_f32_e32 v44, v44, v48
	v_add_f32_e32 v44, v44, v46
	v_exp_f32_e32 v44, v44
	v_cvt_i32_f32_e32 v46, v48
	v_cmp_ngt_f32_e64 s[0:1], s7, v43
	v_ldexp_f32 v44, v44, v46
	v_cndmask_b32_e64 v44, 0, v44, s[0:1]
	v_cmp_nlt_f32_e64 s[0:1], s8, v43
	v_cndmask_b32_e64 v44, v69, v44, s[0:1]
	;; [unrolled: 16-line block ×3, first 2 shown]
	v_mul_f32_e32 v44, v67, v51
	v_fmac_f32_e32 v44, v56, v45
	v_mul_f32_e32 v45, v66, v9
	v_mul_f32_e32 v46, 0x3fb8aa3b, v45
	v_fma_f32 v48, v45, s5, -v46
	v_rndne_f32_e32 v49, v46
	v_fmac_f32_e32 v48, 0x32a5705f, v45
	v_sub_f32_e32 v46, v46, v49
	v_add_f32_e32 v46, v46, v48
	v_exp_f32_e32 v46, v46
	v_cvt_i32_f32_e32 v48, v49
	v_cmp_ngt_f32_e64 s[0:1], s7, v45
	v_ldexp_f32 v46, v46, v48
	ds_read_b128 v[48:51], v54 offset:80
	s_waitcnt lgkmcnt(1)
	v_fma_f32 v68, v74, v31, 0
	v_fmac_f32_e32 v68, v75, v42
	v_cndmask_b32_e64 v46, 0, v46, s[0:1]
	v_cmp_nlt_f32_e64 s[0:1], s8, v45
	v_fmac_f32_e32 v68, v76, v43
	v_cndmask_b32_e64 v46, v69, v46, s[0:1]
	v_mul_f32_e32 v45, v67, v70
	v_fmac_f32_e32 v68, v77, v44
	v_fmac_f32_e32 v45, v57, v46
	v_mul_f32_e32 v46, v66, v10
	s_waitcnt lgkmcnt(0)
	v_fmac_f32_e32 v68, v48, v45
	v_mul_f32_e32 v48, 0x3fb8aa3b, v46
	v_fma_f32 v53, v46, s5, -v48
	v_rndne_f32_e32 v55, v48
	v_fmac_f32_e32 v53, 0x32a5705f, v46
	v_sub_f32_e32 v48, v48, v55
	v_add_f32_e32 v48, v48, v53
	v_exp_f32_e32 v48, v48
	v_cvt_i32_f32_e32 v53, v55
	v_cmp_ngt_f32_e64 s[0:1], s7, v46
	v_ldexp_f32 v48, v48, v53
	v_cndmask_b32_e64 v48, 0, v48, s[0:1]
	v_cmp_nlt_f32_e64 s[0:1], s8, v46
	v_cndmask_b32_e64 v48, v69, v48, s[0:1]
	v_mul_f32_e32 v46, v67, v71
	v_fmac_f32_e32 v46, v47, v48
	v_mul_f32_e32 v47, v66, v11
	v_mul_f32_e32 v48, 0x3fb8aa3b, v47
	v_fmac_f32_e32 v68, v49, v46
	v_fma_f32 v49, v47, s5, -v48
	v_rndne_f32_e32 v53, v48
	v_fmac_f32_e32 v49, 0x32a5705f, v47
	v_sub_f32_e32 v48, v48, v53
	v_add_f32_e32 v48, v48, v49
	v_exp_f32_e32 v48, v48
	v_cvt_i32_f32_e32 v49, v53
	v_cmp_ngt_f32_e64 s[0:1], s7, v47
	v_mul_f32_e32 v53, v67, v17
	v_mul_f32_e32 v17, v66, v2
	v_ldexp_f32 v48, v48, v49
	v_cndmask_b32_e64 v48, 0, v48, s[0:1]
	v_cmp_nlt_f32_e64 s[0:1], s8, v47
	v_cndmask_b32_e64 v48, v69, v48, s[0:1]
	v_mul_f32_e32 v47, v67, v72
	v_fmac_f32_e32 v47, v32, v48
	v_mul_f32_e32 v32, v66, v12
	v_mul_f32_e32 v48, 0x3fb8aa3b, v32
	v_fmac_f32_e32 v68, v50, v47
	v_fma_f32 v49, v32, s5, -v48
	v_rndne_f32_e32 v50, v48
	v_fmac_f32_e32 v49, 0x32a5705f, v32
	v_sub_f32_e32 v48, v48, v50
	v_add_f32_e32 v48, v48, v49
	v_exp_f32_e32 v48, v48
	v_cvt_i32_f32_e32 v49, v50
	v_cmp_ngt_f32_e64 s[0:1], s7, v32
	v_ldexp_f32 v48, v48, v49
	v_cndmask_b32_e64 v48, 0, v48, s[0:1]
	v_cmp_nlt_f32_e64 s[0:1], s8, v32
	v_cndmask_b32_e64 v32, v69, v48, s[0:1]
	v_mul_f32_e32 v48, v67, v73
	v_fmac_f32_e32 v48, v58, v32
	v_mul_f32_e32 v32, v66, v5
	v_mul_f32_e32 v49, 0x3fb8aa3b, v32
	v_fmac_f32_e32 v68, v51, v48
	v_fma_f32 v50, v32, s5, -v49
	v_rndne_f32_e32 v51, v49
	v_fmac_f32_e32 v50, 0x32a5705f, v32
	v_sub_f32_e32 v49, v49, v51
	v_add_f32_e32 v49, v49, v50
	v_exp_f32_e32 v49, v49
	v_cvt_i32_f32_e32 v50, v51
	v_cmp_ngt_f32_e64 s[0:1], s7, v32
	ds_read_b128 v[55:58], v54 offset:96
	v_ldexp_f32 v49, v49, v50
	v_cndmask_b32_e64 v49, 0, v49, s[0:1]
	v_cmp_nlt_f32_e64 s[0:1], s8, v32
	v_cndmask_b32_e64 v32, v69, v49, s[0:1]
	v_mul_f32_e32 v49, v67, v21
	v_mul_f32_e32 v21, v66, v6
	v_fmac_f32_e32 v49, v59, v32
	v_mul_f32_e32 v32, 0x3fb8aa3b, v21
	v_fma_f32 v50, v21, s5, -v32
	v_rndne_f32_e32 v51, v32
	v_fmac_f32_e32 v50, 0x32a5705f, v21
	v_sub_f32_e32 v32, v32, v51
	v_add_f32_e32 v32, v32, v50
	v_exp_f32_e32 v32, v32
	v_cvt_i32_f32_e32 v50, v51
	v_cmp_ngt_f32_e64 s[0:1], s7, v21
	v_ldexp_f32 v32, v32, v50
	v_cndmask_b32_e64 v32, 0, v32, s[0:1]
	v_cmp_nlt_f32_e64 s[0:1], s8, v21
	v_cndmask_b32_e64 v21, v69, v32, s[0:1]
	v_mul_f32_e32 v50, v67, v22
	v_fmac_f32_e32 v50, v52, v21
	v_mul_f32_e32 v21, v66, v7
	v_mul_f32_e32 v22, 0x3fb8aa3b, v21
	v_fma_f32 v32, v21, s5, -v22
	v_rndne_f32_e32 v51, v22
	v_fmac_f32_e32 v32, 0x32a5705f, v21
	v_sub_f32_e32 v22, v22, v51
	v_add_f32_e32 v22, v22, v32
	v_exp_f32_e32 v22, v22
	v_cvt_i32_f32_e32 v32, v51
	v_cmp_ngt_f32_e64 s[0:1], s7, v21
	v_mul_f32_e32 v51, v67, v23
	v_mul_f32_e32 v52, v67, v24
	v_ldexp_f32 v22, v22, v32
	v_cndmask_b32_e64 v22, 0, v22, s[0:1]
	v_cmp_nlt_f32_e64 s[0:1], s8, v21
	v_cndmask_b32_e64 v21, v69, v22, s[0:1]
	v_fmac_f32_e32 v51, v60, v21
	v_mul_f32_e32 v21, v66, v8
	v_mul_f32_e32 v22, 0x3fb8aa3b, v21
	v_fma_f32 v23, v21, s5, -v22
	v_rndne_f32_e32 v32, v22
	v_fmac_f32_e32 v23, 0x32a5705f, v21
	v_sub_f32_e32 v22, v22, v32
	v_add_f32_e32 v22, v22, v23
	v_exp_f32_e32 v22, v22
	v_cvt_i32_f32_e32 v23, v32
	v_cmp_ngt_f32_e64 s[0:1], s7, v21
	v_ldexp_f32 v22, v22, v23
	v_cndmask_b32_e64 v22, 0, v22, s[0:1]
	v_cmp_nlt_f32_e64 s[0:1], s8, v21
	v_cndmask_b32_e64 v21, v69, v22, s[0:1]
	v_fmac_f32_e32 v52, v61, v21
	v_mul_f32_e32 v21, v66, v1
	v_mul_f32_e32 v22, 0x3fb8aa3b, v21
	v_fma_f32 v23, v21, s5, -v22
	v_rndne_f32_e32 v24, v22
	v_fmac_f32_e32 v23, 0x32a5705f, v21
	v_sub_f32_e32 v22, v22, v24
	v_add_f32_e32 v22, v22, v23
	v_exp_f32_e32 v22, v22
	v_cvt_i32_f32_e32 v23, v24
	v_cmp_ngt_f32_e64 s[0:1], s7, v21
	v_ldexp_f32 v22, v22, v23
	v_cndmask_b32_e64 v22, 0, v22, s[0:1]
	v_cmp_nlt_f32_e64 s[0:1], s8, v21
	v_cndmask_b32_e64 v21, v69, v22, s[0:1]
	v_fmac_f32_e32 v53, v62, v21
	ds_read_b128 v[21:24], v54 offset:112
	s_waitcnt lgkmcnt(1)
	v_fmac_f32_e32 v68, v55, v49
	v_fmac_f32_e32 v68, v56, v50
	;; [unrolled: 1-line block ×4, first 2 shown]
	s_waitcnt lgkmcnt(0)
	v_fmac_f32_e32 v68, v21, v53
	v_mul_f32_e32 v21, 0x3fb8aa3b, v17
	v_fma_f32 v32, v17, s5, -v21
	v_rndne_f32_e32 v54, v21
	v_fmac_f32_e32 v32, 0x32a5705f, v17
	v_sub_f32_e32 v21, v21, v54
	v_add_f32_e32 v21, v21, v32
	v_exp_f32_e32 v21, v21
	v_cvt_i32_f32_e32 v32, v54
	v_cmp_ngt_f32_e64 s[0:1], s7, v17
	v_mul_f32_e32 v54, v67, v18
	v_mul_f32_e32 v55, v67, v19
	v_ldexp_f32 v21, v21, v32
	v_cndmask_b32_e64 v21, 0, v21, s[0:1]
	v_cmp_nlt_f32_e64 s[0:1], s8, v17
	v_cndmask_b32_e64 v17, v69, v21, s[0:1]
	v_fmac_f32_e32 v54, v63, v17
	v_mul_f32_e32 v17, v66, v3
	v_mul_f32_e32 v18, 0x3fb8aa3b, v17
	v_fmac_f32_e32 v68, v22, v54
	v_fma_f32 v21, v17, s5, -v18
	v_rndne_f32_e32 v22, v18
	v_fmac_f32_e32 v21, 0x32a5705f, v17
	v_sub_f32_e32 v18, v18, v22
	v_add_f32_e32 v18, v18, v21
	v_exp_f32_e32 v18, v18
	v_cvt_i32_f32_e32 v21, v22
	v_cmp_ngt_f32_e64 s[0:1], s7, v17
	v_mul_f32_e32 v32, v67, v20
	v_ldexp_f32 v18, v18, v21
	v_cndmask_b32_e64 v18, 0, v18, s[0:1]
	v_cmp_nlt_f32_e64 s[0:1], s8, v17
	v_cndmask_b32_e64 v17, v69, v18, s[0:1]
	v_fmac_f32_e32 v55, v64, v17
	v_mul_f32_e32 v17, v66, v4
	v_mul_f32_e32 v18, 0x3fb8aa3b, v17
	v_fma_f32 v19, v17, s5, -v18
	v_rndne_f32_e32 v21, v18
	v_fmac_f32_e32 v19, 0x32a5705f, v17
	v_sub_f32_e32 v18, v18, v21
	v_add_f32_e32 v18, v18, v19
	v_exp_f32_e32 v18, v18
	v_cvt_i32_f32_e32 v19, v21
	v_cmp_ngt_f32_e64 s[0:1], s7, v17
	v_fmac_f32_e32 v68, v23, v55
	v_ldexp_f32 v18, v18, v19
	v_cndmask_b32_e64 v18, 0, v18, s[0:1]
	v_cmp_nlt_f32_e64 s[0:1], s8, v17
	v_cndmask_b32_e64 v17, v69, v18, s[0:1]
	v_fmac_f32_e32 v32, v65, v17
	v_mad_i64_i32 v[17:18], s[0:1], s4, 12, v[29:30]
	v_fmac_f32_e32 v68, v24, v32
	global_store_dword v[17:18], v68, off
	s_waitcnt vmcnt(0)
	s_barrier
	s_and_saveexec_b64 s[8:9], vcc
	s_cbranch_execz .LBB7_18
; %bb.17:
	s_lshl_b64 s[0:1], s[18:19], 4
	v_mov_b32_e32 v18, s1
	v_add_co_u32_e64 v17, s[0:1], s0, v35
	v_addc_co_u32_e64 v18, s[0:1], v36, v18, s[0:1]
	s_lshl_b64 s[0:1], s[20:21], 4
	global_load_dword v19, v[17:18], off
	v_mov_b32_e32 v18, s1
	v_add_co_u32_e64 v17, s[0:1], s0, v37
	v_addc_co_u32_e64 v18, s[0:1], v38, v18, s[0:1]
	global_load_dword v17, v[17:18], off
	s_waitcnt vmcnt(1)
	ds_write_b32 v0, v19
	s_waitcnt vmcnt(0)
	ds_write_b32 v41, v17
.LBB7_18:
	s_or_b64 exec, exec, s[8:9]
	v_mov_b32_e32 v17, s29
	v_add_co_u32_e64 v27, s[0:1], s28, v27
	v_addc_co_u32_e64 v28, s[0:1], v28, v17, s[0:1]
	s_waitcnt lgkmcnt(0)
	s_barrier
	global_load_dword v56, v[27:28], off
	s_mov_b32 s0, 0x41a00000
	s_waitcnt vmcnt(0)
	v_cmp_ge_f32_e64 s[0:1], s0, v56
	s_and_saveexec_b64 s[8:9], s[0:1]
	s_cbranch_execz .LBB7_20
; %bb.19:
	v_mul_f32_e32 v17, 0x3fb8aa3b, v56
	s_mov_b32 s0, 0x3fb8aa3b
	v_rndne_f32_e32 v18, v17
	v_sub_f32_e32 v19, v17, v18
	v_fma_f32 v17, v56, s0, -v17
	v_fmac_f32_e32 v17, 0x32a5705f, v56
	v_add_f32_e32 v17, v19, v17
	v_exp_f32_e32 v17, v17
	v_cvt_i32_f32_e32 v18, v18
	s_mov_b32 s0, 0xc2ce8ed0
	v_cmp_ngt_f32_e64 s[0:1], s0, v56
	v_mov_b32_e32 v19, 0x7f800000
	v_ldexp_f32 v17, v17, v18
	v_cndmask_b32_e64 v17, 0, v17, s[0:1]
	s_mov_b32 s0, 0x42b17218
	v_cmp_nlt_f32_e64 s[0:1], s0, v56
	v_cndmask_b32_e64 v20, v19, v17, s[0:1]
	v_add_f32_e32 v21, 1.0, v20
	v_cvt_f64_f32_e32 v[17:18], v21
	v_add_f32_e32 v22, -1.0, v21
	v_sub_f32_e32 v23, v22, v21
	v_sub_f32_e32 v22, v20, v22
	v_frexp_exp_i32_f64_e32 v17, v[17:18]
	v_add_f32_e32 v18, 1.0, v23
	v_add_f32_e32 v18, v22, v18
	v_frexp_mant_f32_e32 v22, v21
	s_mov_b32 s0, 0x3f2aaaab
	v_cmp_gt_f32_e64 s[0:1], s0, v22
	s_mov_b32 s5, 0x7f800000
	v_subbrev_co_u32_e64 v17, s[0:1], 0, v17, s[0:1]
	v_sub_u32_e32 v22, 0, v17
	v_ldexp_f32 v21, v21, v22
	v_ldexp_f32 v18, v18, v22
	v_add_f32_e32 v22, -1.0, v21
	v_add_f32_e32 v56, 1.0, v21
	v_add_f32_e32 v23, 1.0, v22
	v_add_f32_e32 v57, -1.0, v56
	v_sub_f32_e32 v23, v21, v23
	v_sub_f32_e32 v21, v21, v57
	v_add_f32_e32 v23, v18, v23
	v_add_f32_e32 v18, v18, v21
	;; [unrolled: 1-line block ×3, first 2 shown]
	v_rcp_f32_e32 v57, v21
	v_add_f32_e32 v24, v22, v23
	v_sub_f32_e32 v22, v22, v24
	v_add_f32_e32 v22, v23, v22
	v_sub_f32_e32 v23, v56, v21
	v_add_f32_e32 v18, v18, v23
	v_mul_f32_e32 v23, v24, v57
	v_mul_f32_e32 v56, v21, v23
	v_fma_f32 v58, v23, v21, -v56
	v_fmac_f32_e32 v58, v23, v18
	v_add_f32_e32 v59, v56, v58
	v_sub_f32_e32 v60, v24, v59
	v_sub_f32_e32 v24, v24, v60
	;; [unrolled: 1-line block ×4, first 2 shown]
	v_add_f32_e32 v22, v22, v24
	v_sub_f32_e32 v24, v56, v58
	v_add_f32_e32 v22, v24, v22
	v_add_f32_e32 v24, v60, v22
	v_mul_f32_e32 v56, v57, v24
	v_mul_f32_e32 v58, v21, v56
	v_fma_f32 v21, v56, v21, -v58
	v_fmac_f32_e32 v21, v56, v18
	v_sub_f32_e32 v18, v60, v24
	v_add_f32_e32 v18, v22, v18
	v_add_f32_e32 v22, v58, v21
	v_sub_f32_e32 v59, v24, v22
	v_sub_f32_e32 v24, v24, v59
	v_sub_f32_e32 v58, v22, v58
	v_sub_f32_e32 v22, v24, v22
	v_add_f32_e32 v18, v18, v22
	v_sub_f32_e32 v21, v58, v21
	v_add_f32_e32 v18, v21, v18
	v_add_f32_e32 v21, v23, v56
	;; [unrolled: 1-line block ×3, first 2 shown]
	v_sub_f32_e32 v22, v21, v23
	v_mul_f32_e32 v18, v57, v18
	v_sub_f32_e32 v22, v56, v22
	v_add_f32_e32 v18, v22, v18
	v_cvt_f32_i32_e32 v17, v17
	v_add_f32_e32 v22, v21, v18
	v_mul_f32_e32 v23, v22, v22
	v_mov_b32_e32 v24, 0x3ecc95a3
	v_fmac_f32_e32 v24, 0x3e9b6dac, v23
	v_mov_b32_e32 v56, 0x3f2aaada
	v_fmac_f32_e32 v56, v23, v24
	s_mov_b32 s0, 0x3f317218
	v_mul_f32_e32 v24, 0x3f317218, v17
	v_fma_f32 v57, v17, s0, -v24
	v_fmac_f32_e32 v57, 0xb102e308, v17
	v_sub_f32_e32 v17, v22, v21
	v_sub_f32_e32 v17, v18, v17
	v_add_f32_e32 v18, v24, v57
	v_sub_f32_e32 v21, v18, v24
	v_ldexp_f32 v24, v22, 1
	v_mul_f32_e32 v22, v22, v23
	v_mul_f32_e32 v22, v22, v56
	v_add_f32_e32 v23, v24, v22
	v_sub_f32_e32 v24, v23, v24
	v_ldexp_f32 v17, v17, 1
	v_sub_f32_e32 v22, v22, v24
	v_add_f32_e32 v17, v17, v22
	v_add_f32_e32 v22, v23, v17
	v_sub_f32_e32 v23, v22, v23
	v_sub_f32_e32 v17, v17, v23
	v_add_f32_e32 v23, v18, v22
	v_sub_f32_e32 v24, v23, v18
	v_sub_f32_e32 v56, v23, v24
	v_sub_f32_e32 v21, v57, v21
	v_sub_f32_e32 v18, v18, v56
	v_sub_f32_e32 v22, v22, v24
	v_add_f32_e32 v18, v22, v18
	v_add_f32_e32 v22, v21, v17
	v_sub_f32_e32 v24, v22, v21
	v_sub_f32_e32 v56, v22, v24
	v_sub_f32_e32 v21, v21, v56
	v_sub_f32_e32 v17, v17, v24
	v_add_f32_e32 v18, v22, v18
	v_add_f32_e32 v17, v17, v21
	;; [unrolled: 1-line block ×3, first 2 shown]
	v_sub_f32_e32 v22, v21, v23
	v_sub_f32_e32 v18, v18, v22
	v_add_f32_e32 v17, v17, v18
	v_add_f32_e32 v17, v21, v17
	v_cmp_neq_f32_e64 s[0:1], s5, v20
	v_cndmask_b32_e64 v17, v19, v17, s[0:1]
	s_mov_b32 s0, 0x33800000
	v_cmp_gt_f32_e64 s[0:1], s0, v20
	v_cndmask_b32_e64 v56, v17, v20, s[0:1]
.LBB7_20:
	s_or_b64 exec, exec, s[8:9]
	v_add_co_u32_e64 v17, s[0:1], s30, v25
	v_mov_b32_e32 v18, s31
	v_addc_co_u32_e64 v18, s[0:1], v26, v18, s[0:1]
	global_load_dword v17, v[17:18], off
	s_mov_b32 s5, 0x3fb8aa3b
	s_mov_b32 s8, 0x42b17218
	v_mov_b32_e32 v59, 0x7f800000
	v_mov_b32_e32 v60, 0
	s_ashr_i64 s[2:3], s[2:3], 28
	s_waitcnt vmcnt(0)
	v_mul_f32_e32 v57, v56, v17
	v_mul_f32_e32 v17, v56, v13
	;; [unrolled: 1-line block ×3, first 2 shown]
	v_fma_f32 v19, v17, s5, -v18
	v_rndne_f32_e32 v20, v18
	v_fmac_f32_e32 v19, 0x32a5705f, v17
	v_sub_f32_e32 v18, v18, v20
	v_add_f32_e32 v18, v18, v19
	v_exp_f32_e32 v18, v18
	v_cvt_i32_f32_e32 v19, v20
	v_cmp_ngt_f32_e64 s[0:1], s7, v17
	v_ldexp_f32 v18, v18, v19
	v_cndmask_b32_e64 v18, 0, v18, s[0:1]
	v_cmp_nlt_f32_e64 s[0:1], s8, v17
	v_cndmask_b32_e64 v26, v59, v18, s[0:1]
	ds_read_b128 v[61:64], v60
	ds_read_b128 v[65:68], v60 offset:16
	ds_read_b128 v[21:24], v60 offset:32
	;; [unrolled: 1-line block ×4, first 2 shown]
	s_waitcnt lgkmcnt(4)
	v_mul_f32_e32 v25, v57, v61
	v_fmac_f32_e32 v25, v31, v26
	v_mul_f32_e32 v26, v56, v14
	v_mul_f32_e32 v31, 0x3fb8aa3b, v26
	s_waitcnt lgkmcnt(0)
	v_fma_f32 v58, v69, v25, 0
	v_fma_f32 v61, v26, s5, -v31
	v_rndne_f32_e32 v69, v31
	v_fmac_f32_e32 v61, 0x32a5705f, v26
	v_sub_f32_e32 v31, v31, v69
	v_add_f32_e32 v31, v31, v61
	v_exp_f32_e32 v31, v31
	v_cvt_i32_f32_e32 v61, v69
	v_cmp_ngt_f32_e64 s[0:1], s7, v26
	v_mul_f32_e32 v17, v57, v17
	v_mul_f32_e32 v18, v57, v18
	v_ldexp_f32 v31, v31, v61
	v_cndmask_b32_e64 v31, 0, v31, s[0:1]
	v_cmp_nlt_f32_e64 s[0:1], s8, v26
	v_cndmask_b32_e64 v31, v59, v31, s[0:1]
	v_mul_f32_e32 v26, v57, v62
	v_fmac_f32_e32 v26, v42, v31
	v_mul_f32_e32 v31, v56, v15
	v_mul_f32_e32 v42, 0x3fb8aa3b, v31
	v_fma_f32 v61, v31, s5, -v42
	v_rndne_f32_e32 v62, v42
	v_fmac_f32_e32 v61, 0x32a5705f, v31
	v_sub_f32_e32 v42, v42, v62
	v_add_f32_e32 v42, v42, v61
	v_exp_f32_e32 v42, v42
	v_cvt_i32_f32_e32 v61, v62
	v_cmp_ngt_f32_e64 s[0:1], s7, v31
	v_fmac_f32_e32 v58, v70, v26
	v_mul_f32_e32 v19, v57, v19
	v_ldexp_f32 v42, v42, v61
	v_cndmask_b32_e64 v42, 0, v42, s[0:1]
	v_cmp_nlt_f32_e64 s[0:1], s8, v31
	v_cndmask_b32_e64 v42, v59, v42, s[0:1]
	v_mul_f32_e32 v31, v57, v63
	v_fmac_f32_e32 v31, v43, v42
	v_mul_f32_e32 v42, v56, v16
	v_mul_f32_e32 v43, 0x3fb8aa3b, v42
	v_fma_f32 v61, v42, s5, -v43
	v_rndne_f32_e32 v62, v43
	v_fmac_f32_e32 v61, 0x32a5705f, v42
	v_sub_f32_e32 v43, v43, v62
	v_add_f32_e32 v43, v43, v61
	v_exp_f32_e32 v43, v43
	v_cvt_i32_f32_e32 v61, v62
	v_cmp_ngt_f32_e64 s[0:1], s7, v42
	v_fmac_f32_e32 v58, v71, v31
	v_mul_f32_e32 v20, v57, v20
	v_ldexp_f32 v43, v43, v61
	v_cndmask_b32_e64 v43, 0, v43, s[0:1]
	v_cmp_nlt_f32_e64 s[0:1], s8, v42
	v_cndmask_b32_e64 v43, v59, v43, s[0:1]
	v_mul_f32_e32 v42, v57, v64
	v_fmac_f32_e32 v42, v44, v43
	v_mul_f32_e32 v43, v56, v9
	v_mul_f32_e32 v44, 0x3fb8aa3b, v43
	v_fma_f32 v61, v43, s5, -v44
	v_rndne_f32_e32 v62, v44
	v_fmac_f32_e32 v61, 0x32a5705f, v43
	v_sub_f32_e32 v44, v44, v62
	v_add_f32_e32 v44, v44, v61
	v_exp_f32_e32 v44, v44
	v_cvt_i32_f32_e32 v61, v62
	v_cmp_ngt_f32_e64 s[0:1], s7, v43
	v_fmac_f32_e32 v58, v72, v42
	v_ldexp_f32 v44, v44, v61
	ds_read_b128 v[61:64], v60 offset:80
	v_cndmask_b32_e64 v44, 0, v44, s[0:1]
	v_cmp_nlt_f32_e64 s[0:1], s8, v43
	v_cndmask_b32_e64 v44, v59, v44, s[0:1]
	v_mul_f32_e32 v43, v57, v65
	v_fmac_f32_e32 v43, v45, v44
	v_mul_f32_e32 v44, v56, v10
	v_mul_f32_e32 v45, 0x3fb8aa3b, v44
	s_waitcnt lgkmcnt(0)
	v_fmac_f32_e32 v58, v61, v43
	v_fma_f32 v61, v44, s5, -v45
	v_rndne_f32_e32 v65, v45
	v_fmac_f32_e32 v61, 0x32a5705f, v44
	v_sub_f32_e32 v45, v45, v65
	v_add_f32_e32 v45, v45, v61
	v_exp_f32_e32 v45, v45
	v_cvt_i32_f32_e32 v61, v65
	v_cmp_ngt_f32_e64 s[0:1], s7, v44
	v_ldexp_f32 v45, v45, v61
	v_cndmask_b32_e64 v45, 0, v45, s[0:1]
	v_cmp_nlt_f32_e64 s[0:1], s8, v44
	v_cndmask_b32_e64 v45, v59, v45, s[0:1]
	v_mul_f32_e32 v44, v57, v66
	v_fmac_f32_e32 v44, v46, v45
	v_mul_f32_e32 v45, v56, v11
	v_mul_f32_e32 v46, 0x3fb8aa3b, v45
	v_fmac_f32_e32 v58, v62, v44
	v_fma_f32 v61, v45, s5, -v46
	v_rndne_f32_e32 v62, v46
	v_fmac_f32_e32 v61, 0x32a5705f, v45
	v_sub_f32_e32 v46, v46, v62
	v_add_f32_e32 v46, v46, v61
	v_exp_f32_e32 v46, v46
	v_cvt_i32_f32_e32 v61, v62
	v_cmp_ngt_f32_e64 s[0:1], s7, v45
	v_ldexp_f32 v46, v46, v61
	v_cndmask_b32_e64 v46, 0, v46, s[0:1]
	v_cmp_nlt_f32_e64 s[0:1], s8, v45
	v_cndmask_b32_e64 v46, v59, v46, s[0:1]
	v_mul_f32_e32 v45, v57, v67
	v_fmac_f32_e32 v45, v47, v46
	v_mul_f32_e32 v46, v56, v12
	v_mul_f32_e32 v47, 0x3fb8aa3b, v46
	v_fma_f32 v61, v46, s5, -v47
	v_rndne_f32_e32 v62, v47
	v_fmac_f32_e32 v61, 0x32a5705f, v46
	v_sub_f32_e32 v47, v47, v62
	v_add_f32_e32 v47, v47, v61
	v_exp_f32_e32 v47, v47
	v_cvt_i32_f32_e32 v61, v62
	v_cmp_ngt_f32_e64 s[0:1], s7, v46
	v_fmac_f32_e32 v58, v63, v45
	v_ldexp_f32 v47, v47, v61
	v_cndmask_b32_e64 v47, 0, v47, s[0:1]
	v_cmp_nlt_f32_e64 s[0:1], s8, v46
	v_cndmask_b32_e64 v47, v59, v47, s[0:1]
	v_mul_f32_e32 v46, v57, v68
	v_fmac_f32_e32 v46, v48, v47
	v_mul_f32_e32 v47, v56, v5
	v_mul_f32_e32 v48, 0x3fb8aa3b, v47
	v_fma_f32 v61, v47, s5, -v48
	v_rndne_f32_e32 v62, v48
	v_fmac_f32_e32 v61, 0x32a5705f, v47
	v_sub_f32_e32 v48, v48, v62
	v_add_f32_e32 v48, v48, v61
	v_exp_f32_e32 v48, v48
	v_cvt_i32_f32_e32 v61, v62
	v_fmac_f32_e32 v58, v64, v46
	v_cmp_ngt_f32_e64 s[0:1], s7, v47
	v_ldexp_f32 v48, v48, v61
	ds_read_b128 v[61:64], v60 offset:96
	v_cndmask_b32_e64 v48, 0, v48, s[0:1]
	v_cmp_nlt_f32_e64 s[0:1], s8, v47
	v_cndmask_b32_e64 v48, v59, v48, s[0:1]
	v_mul_f32_e32 v47, v57, v21
	v_mul_f32_e32 v21, v56, v6
	v_fmac_f32_e32 v47, v49, v48
	v_mul_f32_e32 v48, 0x3fb8aa3b, v21
	s_waitcnt lgkmcnt(0)
	v_fmac_f32_e32 v58, v61, v47
	v_fma_f32 v49, v21, s5, -v48
	v_rndne_f32_e32 v61, v48
	v_fmac_f32_e32 v49, 0x32a5705f, v21
	v_sub_f32_e32 v48, v48, v61
	v_add_f32_e32 v48, v48, v49
	v_exp_f32_e32 v48, v48
	v_cvt_i32_f32_e32 v49, v61
	v_cmp_ngt_f32_e64 s[0:1], s7, v21
	v_ldexp_f32 v48, v48, v49
	v_cndmask_b32_e64 v48, 0, v48, s[0:1]
	v_cmp_nlt_f32_e64 s[0:1], s8, v21
	v_cndmask_b32_e64 v48, v59, v48, s[0:1]
	v_mul_f32_e32 v21, v57, v22
	v_mul_f32_e32 v22, v56, v7
	v_fmac_f32_e32 v21, v50, v48
	v_mul_f32_e32 v48, 0x3fb8aa3b, v22
	v_fma_f32 v49, v22, s5, -v48
	v_rndne_f32_e32 v50, v48
	v_fmac_f32_e32 v49, 0x32a5705f, v22
	v_sub_f32_e32 v48, v48, v50
	v_add_f32_e32 v48, v48, v49
	v_exp_f32_e32 v48, v48
	v_cvt_i32_f32_e32 v49, v50
	v_cmp_ngt_f32_e64 s[0:1], s7, v22
	v_fmac_f32_e32 v58, v62, v21
	v_ldexp_f32 v48, v48, v49
	v_cndmask_b32_e64 v48, 0, v48, s[0:1]
	v_cmp_nlt_f32_e64 s[0:1], s8, v22
	v_cndmask_b32_e64 v48, v59, v48, s[0:1]
	v_mul_f32_e32 v22, v57, v23
	v_mul_f32_e32 v23, v56, v8
	v_fmac_f32_e32 v22, v51, v48
	v_mul_f32_e32 v48, 0x3fb8aa3b, v23
	v_fma_f32 v49, v23, s5, -v48
	v_rndne_f32_e32 v50, v48
	v_fmac_f32_e32 v49, 0x32a5705f, v23
	v_sub_f32_e32 v48, v48, v50
	v_add_f32_e32 v48, v48, v49
	v_exp_f32_e32 v48, v48
	v_cvt_i32_f32_e32 v49, v50
	v_cmp_ngt_f32_e64 s[0:1], s7, v23
	v_fmac_f32_e32 v58, v63, v22
	v_ldexp_f32 v48, v48, v49
	v_cndmask_b32_e64 v48, 0, v48, s[0:1]
	v_cmp_nlt_f32_e64 s[0:1], s8, v23
	v_cndmask_b32_e64 v48, v59, v48, s[0:1]
	v_mul_f32_e32 v23, v57, v24
	v_mul_f32_e32 v24, v56, v1
	v_fmac_f32_e32 v23, v52, v48
	v_mul_f32_e32 v48, 0x3fb8aa3b, v24
	v_fma_f32 v49, v24, s5, -v48
	v_rndne_f32_e32 v50, v48
	v_fmac_f32_e32 v49, 0x32a5705f, v24
	v_sub_f32_e32 v48, v48, v50
	v_add_f32_e32 v48, v48, v49
	v_exp_f32_e32 v48, v48
	v_cvt_i32_f32_e32 v49, v50
	v_cmp_ngt_f32_e64 s[0:1], s7, v24
	v_fmac_f32_e32 v58, v64, v23
	v_ldexp_f32 v48, v48, v49
	v_cndmask_b32_e64 v48, 0, v48, s[0:1]
	v_cmp_nlt_f32_e64 s[0:1], s8, v24
	v_cndmask_b32_e64 v24, v59, v48, s[0:1]
	ds_read_b128 v[48:51], v60 offset:112
	v_fmac_f32_e32 v17, v53, v24
	v_mul_f32_e32 v24, v56, v2
	v_cmp_ngt_f32_e64 s[0:1], s7, v24
	s_waitcnt lgkmcnt(0)
	v_fmac_f32_e32 v58, v48, v17
	v_mul_f32_e32 v48, 0x3fb8aa3b, v24
	v_fma_f32 v52, v24, s5, -v48
	v_rndne_f32_e32 v53, v48
	v_fmac_f32_e32 v52, 0x32a5705f, v24
	v_sub_f32_e32 v48, v48, v53
	v_add_f32_e32 v48, v48, v52
	v_exp_f32_e32 v48, v48
	v_cvt_i32_f32_e32 v52, v53
	v_ldexp_f32 v48, v48, v52
	v_cndmask_b32_e64 v48, 0, v48, s[0:1]
	v_cmp_nlt_f32_e64 s[0:1], s8, v24
	v_cndmask_b32_e64 v24, v59, v48, s[0:1]
	v_fmac_f32_e32 v18, v54, v24
	v_mul_f32_e32 v24, v56, v3
	v_mul_f32_e32 v48, 0x3fb8aa3b, v24
	v_fmac_f32_e32 v58, v49, v18
	v_fma_f32 v49, v24, s5, -v48
	v_rndne_f32_e32 v52, v48
	v_fmac_f32_e32 v49, 0x32a5705f, v24
	v_sub_f32_e32 v48, v48, v52
	v_add_f32_e32 v48, v48, v49
	v_exp_f32_e32 v48, v48
	v_cvt_i32_f32_e32 v49, v52
	v_cmp_ngt_f32_e64 s[0:1], s7, v24
	v_ldexp_f32 v48, v48, v49
	v_cndmask_b32_e64 v48, 0, v48, s[0:1]
	v_cmp_nlt_f32_e64 s[0:1], s8, v24
	v_cndmask_b32_e64 v24, v59, v48, s[0:1]
	v_fmac_f32_e32 v19, v55, v24
	v_mul_f32_e32 v24, v56, v4
	v_mul_f32_e32 v48, 0x3fb8aa3b, v24
	v_fmac_f32_e32 v58, v50, v19
	v_fma_f32 v49, v24, s5, -v48
	v_rndne_f32_e32 v50, v48
	v_fmac_f32_e32 v49, 0x32a5705f, v24
	v_sub_f32_e32 v48, v48, v50
	v_add_f32_e32 v48, v48, v49
	v_exp_f32_e32 v48, v48
	v_cvt_i32_f32_e32 v49, v50
	v_cmp_ngt_f32_e64 s[0:1], s7, v24
	v_ldexp_f32 v48, v48, v49
	v_cndmask_b32_e64 v48, 0, v48, s[0:1]
	v_cmp_nlt_f32_e64 s[0:1], s8, v24
	v_cndmask_b32_e64 v24, v59, v48, s[0:1]
	v_fmac_f32_e32 v20, v32, v24
	v_add_co_u32_e64 v48, s[0:1], s2, v29
	v_mov_b32_e32 v24, s3
	v_fmac_f32_e32 v58, v51, v20
	v_addc_co_u32_e64 v49, s[0:1], v30, v24, s[0:1]
	global_store_dword v[48:49], v58, off
	s_waitcnt vmcnt(0)
	s_barrier
	s_and_saveexec_b64 s[0:1], vcc
	s_cbranch_execz .LBB7_22
; %bb.21:
	v_mad_i64_i32 v[35:36], s[2:3], s18, 20, v[35:36]
	v_mad_i64_i32 v[37:38], s[2:3], s20, 20, v[37:38]
	global_load_dword v24, v[35:36], off
	global_load_dword v32, v[37:38], off
	s_waitcnt vmcnt(1)
	ds_write_b32 v0, v24
	s_waitcnt vmcnt(0)
	ds_write_b32 v41, v32
.LBB7_22:
	s_or_b64 exec, exec, s[0:1]
	v_mov_b32_e32 v0, s29
	v_add_co_u32_e32 v27, vcc, s28, v27
	v_addc_co_u32_e32 v28, vcc, v28, v0, vcc
	s_waitcnt lgkmcnt(0)
	s_barrier
	global_load_dword v0, v[27:28], off
	s_mov_b32 s0, 0x41a00000
	s_waitcnt vmcnt(0)
	v_cmp_ge_f32_e32 vcc, s0, v0
	s_and_saveexec_b64 s[0:1], vcc
	s_cbranch_execz .LBB7_24
; %bb.23:
	v_mul_f32_e32 v24, 0x3fb8aa3b, v0
	s_mov_b32 s2, 0x3fb8aa3b
	v_rndne_f32_e32 v27, v24
	v_sub_f32_e32 v28, v24, v27
	v_fma_f32 v24, v0, s2, -v24
	v_fmac_f32_e32 v24, 0x32a5705f, v0
	v_add_f32_e32 v24, v28, v24
	v_exp_f32_e32 v24, v24
	v_cvt_i32_f32_e32 v27, v27
	s_mov_b32 s2, 0xc2ce8ed0
	v_cmp_ngt_f32_e32 vcc, s2, v0
	s_mov_b32 s2, 0x42b17218
	v_ldexp_f32 v24, v24, v27
	v_cndmask_b32_e32 v24, 0, v24, vcc
	v_mov_b32_e32 v32, 0x7f800000
	v_cmp_nlt_f32_e32 vcc, s2, v0
	v_cndmask_b32_e32 v0, v32, v24, vcc
	v_add_f32_e32 v24, 1.0, v0
	v_cvt_f64_f32_e32 v[27:28], v24
	v_add_f32_e32 v35, -1.0, v24
	v_sub_f32_e32 v36, v35, v24
	v_sub_f32_e32 v35, v0, v35
	v_frexp_exp_i32_f64_e32 v27, v[27:28]
	v_add_f32_e32 v28, 1.0, v36
	v_add_f32_e32 v28, v35, v28
	v_frexp_mant_f32_e32 v35, v24
	s_mov_b32 s3, 0x3f2aaaab
	v_cmp_gt_f32_e32 vcc, s3, v35
	s_mov_b32 s3, 0x3f317218
	s_mov_b32 s2, 0x7f800000
	v_subbrev_co_u32_e32 v27, vcc, 0, v27, vcc
	v_sub_u32_e32 v35, 0, v27
	v_ldexp_f32 v24, v24, v35
	v_ldexp_f32 v28, v28, v35
	v_add_f32_e32 v35, -1.0, v24
	v_add_f32_e32 v38, 1.0, v24
	v_add_f32_e32 v36, 1.0, v35
	v_add_f32_e32 v41, -1.0, v38
	v_sub_f32_e32 v36, v24, v36
	v_sub_f32_e32 v24, v24, v41
	v_add_f32_e32 v24, v28, v24
	v_add_f32_e32 v36, v28, v36
	;; [unrolled: 1-line block ×3, first 2 shown]
	v_rcp_f32_e32 v41, v28
	v_add_f32_e32 v37, v35, v36
	v_sub_f32_e32 v35, v35, v37
	v_add_f32_e32 v35, v36, v35
	v_sub_f32_e32 v36, v38, v28
	v_add_f32_e32 v24, v24, v36
	v_mul_f32_e32 v36, v37, v41
	v_mul_f32_e32 v38, v28, v36
	v_fma_f32 v48, v36, v28, -v38
	v_fmac_f32_e32 v48, v36, v24
	v_add_f32_e32 v49, v38, v48
	v_sub_f32_e32 v50, v37, v49
	v_sub_f32_e32 v37, v37, v50
	;; [unrolled: 1-line block ×4, first 2 shown]
	v_add_f32_e32 v35, v35, v37
	v_sub_f32_e32 v37, v38, v48
	v_add_f32_e32 v35, v37, v35
	v_add_f32_e32 v37, v50, v35
	v_mul_f32_e32 v38, v41, v37
	v_mul_f32_e32 v48, v28, v38
	v_fma_f32 v28, v38, v28, -v48
	v_fmac_f32_e32 v28, v38, v24
	v_sub_f32_e32 v24, v50, v37
	v_add_f32_e32 v24, v35, v24
	v_add_f32_e32 v35, v48, v28
	v_sub_f32_e32 v49, v37, v35
	v_sub_f32_e32 v37, v37, v49
	;; [unrolled: 1-line block ×4, first 2 shown]
	v_add_f32_e32 v24, v24, v35
	v_sub_f32_e32 v28, v48, v28
	v_add_f32_e32 v24, v28, v24
	v_add_f32_e32 v28, v36, v38
	v_add_f32_e32 v24, v49, v24
	v_sub_f32_e32 v35, v28, v36
	v_mul_f32_e32 v24, v41, v24
	v_sub_f32_e32 v35, v38, v35
	v_add_f32_e32 v24, v35, v24
	v_cvt_f32_i32_e32 v27, v27
	v_add_f32_e32 v35, v28, v24
	v_mul_f32_e32 v36, v35, v35
	v_mov_b32_e32 v37, 0x3ecc95a3
	v_fmac_f32_e32 v37, 0x3e9b6dac, v36
	v_mov_b32_e32 v38, 0x3f2aaada
	v_fmac_f32_e32 v38, v36, v37
	v_mul_f32_e32 v37, 0x3f317218, v27
	v_fma_f32 v41, v27, s3, -v37
	v_fmac_f32_e32 v41, 0xb102e308, v27
	v_sub_f32_e32 v27, v35, v28
	v_sub_f32_e32 v24, v24, v27
	v_add_f32_e32 v27, v37, v41
	v_sub_f32_e32 v28, v27, v37
	v_ldexp_f32 v37, v35, 1
	v_mul_f32_e32 v35, v35, v36
	v_mul_f32_e32 v35, v35, v38
	v_add_f32_e32 v36, v37, v35
	v_sub_f32_e32 v37, v36, v37
	v_ldexp_f32 v24, v24, 1
	v_sub_f32_e32 v35, v35, v37
	v_add_f32_e32 v24, v24, v35
	v_add_f32_e32 v35, v36, v24
	v_sub_f32_e32 v36, v35, v36
	v_sub_f32_e32 v24, v24, v36
	v_add_f32_e32 v36, v27, v35
	v_sub_f32_e32 v37, v36, v27
	v_sub_f32_e32 v38, v36, v37
	;; [unrolled: 1-line block ×5, first 2 shown]
	v_add_f32_e32 v27, v35, v27
	v_add_f32_e32 v35, v28, v24
	v_sub_f32_e32 v37, v35, v28
	v_sub_f32_e32 v38, v35, v37
	;; [unrolled: 1-line block ×4, first 2 shown]
	v_add_f32_e32 v27, v35, v27
	v_add_f32_e32 v24, v24, v28
	;; [unrolled: 1-line block ×3, first 2 shown]
	v_sub_f32_e32 v35, v28, v36
	v_sub_f32_e32 v27, v27, v35
	v_add_f32_e32 v24, v24, v27
	v_add_f32_e32 v24, v28, v24
	v_cmp_neq_f32_e32 vcc, s2, v0
	s_mov_b32 s2, 0x33800000
	v_cndmask_b32_e32 v24, v32, v24, vcc
	v_cmp_gt_f32_e32 vcc, s2, v0
	v_cndmask_b32_e32 v0, v24, v0, vcc
.LBB7_24:
	s_or_b64 exec, exec, s[0:1]
	v_mad_i64_i32 v[27:28], s[0:1], s26, 20, v[39:40]
	s_mov_b32 s1, 0x3fb8aa3b
	v_mul_f32_e32 v39, v0, v14
	global_load_dword v24, v[27:28], off
	v_mul_f32_e32 v27, v0, v13
	v_mul_f32_e32 v64, 0x3fb8aa3b, v27
	;; [unrolled: 1-line block ×4, first 2 shown]
	v_fma_f32 v69, v27, s1, -v64
	v_rndne_f32_e32 v70, v64
	v_mul_f32_e32 v41, v0, v16
	v_mul_f32_e32 v66, 0x3fb8aa3b, v40
	v_fma_f32 v71, v39, s1, -v65
	v_rndne_f32_e32 v72, v65
	v_fmac_f32_e32 v69, 0x32a5705f, v27
	v_sub_f32_e32 v64, v64, v70
	v_mul_f32_e32 v67, 0x3fb8aa3b, v41
	v_fma_f32 v73, v40, s1, -v66
	v_rndne_f32_e32 v74, v66
	v_fmac_f32_e32 v71, 0x32a5705f, v39
	v_sub_f32_e32 v65, v65, v72
	v_add_f32_e32 v64, v64, v69
	v_fma_f32 v75, v41, s1, -v67
	v_rndne_f32_e32 v76, v67
	v_cvt_i32_f32_e32 v70, v70
	v_fmac_f32_e32 v73, 0x32a5705f, v40
	v_sub_f32_e32 v66, v66, v74
	v_add_f32_e32 v65, v65, v71
	v_exp_f32_e32 v64, v64
	v_cvt_i32_f32_e32 v72, v72
	v_fmac_f32_e32 v75, 0x32a5705f, v41
	v_sub_f32_e32 v67, v67, v76
	v_add_f32_e32 v66, v66, v73
	v_exp_f32_e32 v65, v65
	v_cvt_i32_f32_e32 v74, v74
	v_add_f32_e32 v67, v67, v75
	v_exp_f32_e32 v66, v66
	s_mov_b32 s0, 0xc2ce8ed0
	v_cvt_i32_f32_e32 v76, v76
	v_exp_f32_e32 v67, v67
	v_ldexp_f32 v64, v64, v70
	v_cmp_ngt_f32_e32 vcc, s0, v27
	v_ldexp_f32 v65, v65, v72
	v_cndmask_b32_e32 v64, 0, v64, vcc
	v_cmp_ngt_f32_e32 vcc, s0, v39
	v_mul_f32_e32 v9, v0, v9
	v_ldexp_f32 v66, v66, v74
	v_cndmask_b32_e32 v65, 0, v65, vcc
	v_cmp_ngt_f32_e32 vcc, s0, v40
	s_mov_b32 s2, 0x42b17218
	v_mov_b32_e32 v32, 0
	v_mul_f32_e32 v68, 0x3fb8aa3b, v9
	v_ldexp_f32 v67, v67, v76
	v_cndmask_b32_e32 v66, 0, v66, vcc
	v_cmp_ngt_f32_e32 vcc, s0, v41
	v_mov_b32_e32 v28, 0x7f800000
	ds_read_b128 v[13:16], v32
	ds_read_b128 v[35:38], v32 offset:16
	ds_read_b128 v[48:51], v32 offset:32
	ds_read_b128 v[52:55], v32 offset:48
	v_fma_f32 v77, v9, s1, -v68
	v_rndne_f32_e32 v78, v68
	v_cndmask_b32_e32 v67, 0, v67, vcc
	v_cmp_nlt_f32_e32 vcc, s2, v27
	v_fmac_f32_e32 v77, 0x32a5705f, v9
	v_cndmask_b32_e32 v27, v28, v64, vcc
	v_cmp_nlt_f32_e32 vcc, s2, v39
	v_cndmask_b32_e32 v39, v28, v65, vcc
	v_cmp_nlt_f32_e32 vcc, s2, v40
	;; [unrolled: 2-line block ×3, first 2 shown]
	v_cndmask_b32_e32 v41, v28, v67, vcc
	v_cmp_ngt_f32_e32 vcc, s0, v9
	v_mul_f32_e32 v10, v0, v10
	v_mul_f32_e32 v11, v0, v11
	;; [unrolled: 1-line block ×4, first 2 shown]
	ds_read_b128 v[56:59], v32 offset:64
	ds_read_b128 v[60:63], v32 offset:80
	v_mul_f32_e32 v6, v0, v6
	v_mul_f32_e32 v7, v0, v7
	v_mul_f32_e32 v8, v0, v8
	v_mul_f32_e32 v1, v0, v1
	v_mul_f32_e32 v2, v0, v2
	v_mul_f32_e32 v3, v0, v3
	s_add_u32 s3, s22, s36
	s_mul_i32 s5, s25, s6
	s_waitcnt vmcnt(0)
	v_mul_f32_e32 v64, v0, v24
	v_sub_f32_e32 v24, v68, v78
	s_waitcnt lgkmcnt(5)
	v_mul_f32_e32 v13, v64, v13
	v_add_f32_e32 v24, v24, v77
	v_fmac_f32_e32 v13, v25, v27
	v_exp_f32_e32 v24, v24
	v_cvt_i32_f32_e32 v25, v78
	v_mul_f32_e32 v14, v64, v14
	v_fmac_f32_e32 v14, v26, v39
	v_mul_f32_e32 v15, v64, v15
	v_ldexp_f32 v24, v24, v25
	v_cndmask_b32_e32 v24, 0, v24, vcc
	v_cmp_nlt_f32_e32 vcc, s2, v9
	v_mul_f32_e32 v9, 0x3fb8aa3b, v10
	v_fma_f32 v25, v10, s1, -v9
	v_rndne_f32_e32 v26, v9
	v_fmac_f32_e32 v25, 0x32a5705f, v10
	v_sub_f32_e32 v9, v9, v26
	v_add_f32_e32 v9, v9, v25
	v_exp_f32_e32 v25, v9
	v_cvt_i32_f32_e32 v26, v26
	v_cndmask_b32_e32 v24, v28, v24, vcc
	s_waitcnt lgkmcnt(4)
	v_mul_f32_e32 v9, v64, v35
	v_fmac_f32_e32 v9, v43, v24
	v_ldexp_f32 v24, v25, v26
	v_cmp_ngt_f32_e32 vcc, s0, v10
	v_cndmask_b32_e32 v24, 0, v24, vcc
	v_cmp_nlt_f32_e32 vcc, s2, v10
	v_mul_f32_e32 v10, 0x3fb8aa3b, v11
	v_fma_f32 v25, v11, s1, -v10
	v_rndne_f32_e32 v26, v10
	v_fmac_f32_e32 v25, 0x32a5705f, v11
	v_sub_f32_e32 v10, v10, v26
	v_add_f32_e32 v10, v10, v25
	v_exp_f32_e32 v25, v10
	v_cvt_i32_f32_e32 v26, v26
	v_cndmask_b32_e32 v24, v28, v24, vcc
	v_mul_f32_e32 v10, v64, v36
	v_fmac_f32_e32 v10, v44, v24
	v_ldexp_f32 v24, v25, v26
	v_cmp_ngt_f32_e32 vcc, s0, v11
	v_cndmask_b32_e32 v24, 0, v24, vcc
	v_cmp_nlt_f32_e32 vcc, s2, v11
	v_mul_f32_e32 v11, 0x3fb8aa3b, v12
	v_fma_f32 v25, v12, s1, -v11
	v_rndne_f32_e32 v26, v11
	v_fmac_f32_e32 v25, 0x32a5705f, v12
	v_sub_f32_e32 v11, v11, v26
	v_add_f32_e32 v11, v11, v25
	v_exp_f32_e32 v25, v11
	v_cvt_i32_f32_e32 v26, v26
	v_cndmask_b32_e32 v24, v28, v24, vcc
	v_mul_f32_e32 v11, v64, v37
	v_fmac_f32_e32 v11, v45, v24
	v_ldexp_f32 v24, v25, v26
	v_cmp_ngt_f32_e32 vcc, s0, v12
	v_cndmask_b32_e32 v24, 0, v24, vcc
	v_cmp_nlt_f32_e32 vcc, s2, v12
	v_mul_f32_e32 v12, 0x3fb8aa3b, v5
	v_fma_f32 v25, v5, s1, -v12
	v_rndne_f32_e32 v26, v12
	v_fmac_f32_e32 v25, 0x32a5705f, v5
	v_sub_f32_e32 v12, v12, v26
	v_add_f32_e32 v12, v12, v25
	v_exp_f32_e32 v25, v12
	v_cvt_i32_f32_e32 v26, v26
	v_fmac_f32_e32 v15, v31, v40
	s_waitcnt lgkmcnt(1)
	v_fma_f32 v31, v56, v13, 0
	v_cndmask_b32_e32 v24, v28, v24, vcc
	v_mul_f32_e32 v12, v64, v38
	v_mul_f32_e32 v36, 0x3fb8aa3b, v6
	v_fmac_f32_e32 v31, v57, v14
	v_mul_f32_e32 v16, v64, v16
	v_fmac_f32_e32 v12, v46, v24
	v_ldexp_f32 v24, v25, v26
	v_cmp_ngt_f32_e32 vcc, s0, v5
	v_fma_f32 v37, v6, s1, -v36
	v_rndne_f32_e32 v38, v36
	v_fmac_f32_e32 v31, v58, v15
	v_fmac_f32_e32 v16, v42, v41
	v_cndmask_b32_e32 v24, 0, v24, vcc
	v_cmp_nlt_f32_e32 vcc, s2, v5
	v_fmac_f32_e32 v37, 0x32a5705f, v6
	v_sub_f32_e32 v36, v36, v38
	v_fmac_f32_e32 v31, v59, v16
	v_cndmask_b32_e32 v35, v28, v24, vcc
	ds_read_b128 v[24:27], v32 offset:96
	v_add_f32_e32 v36, v36, v37
	s_waitcnt lgkmcnt(1)
	v_fmac_f32_e32 v31, v60, v9
	v_exp_f32_e32 v39, v36
	v_cvt_i32_f32_e32 v40, v38
	v_fmac_f32_e32 v31, v61, v10
	v_fmac_f32_e32 v31, v62, v11
	v_mul_f32_e32 v5, v64, v48
	v_fmac_f32_e32 v31, v63, v12
	v_fmac_f32_e32 v5, v47, v35
	ds_read_b128 v[35:38], v32 offset:112
	s_waitcnt lgkmcnt(1)
	v_fmac_f32_e32 v31, v24, v5
	v_ldexp_f32 v24, v39, v40
	v_cmp_ngt_f32_e32 vcc, s0, v6
	v_cndmask_b32_e32 v24, 0, v24, vcc
	v_cmp_nlt_f32_e32 vcc, s2, v6
	v_mul_f32_e32 v6, 0x3fb8aa3b, v7
	v_fma_f32 v32, v7, s1, -v6
	v_rndne_f32_e32 v39, v6
	v_fmac_f32_e32 v32, 0x32a5705f, v7
	v_sub_f32_e32 v6, v6, v39
	v_add_f32_e32 v6, v6, v32
	v_exp_f32_e32 v32, v6
	v_cvt_i32_f32_e32 v39, v39
	v_cndmask_b32_e32 v24, v28, v24, vcc
	v_mul_f32_e32 v6, v64, v49
	v_fmac_f32_e32 v6, v21, v24
	v_ldexp_f32 v21, v32, v39
	v_cmp_ngt_f32_e32 vcc, s0, v7
	v_cndmask_b32_e32 v21, 0, v21, vcc
	v_cmp_nlt_f32_e32 vcc, s2, v7
	v_mul_f32_e32 v7, 0x3fb8aa3b, v8
	v_fmac_f32_e32 v31, v25, v6
	v_fma_f32 v24, v8, s1, -v7
	v_rndne_f32_e32 v25, v7
	v_fmac_f32_e32 v24, 0x32a5705f, v8
	v_sub_f32_e32 v7, v7, v25
	v_add_f32_e32 v7, v7, v24
	v_exp_f32_e32 v24, v7
	v_cvt_i32_f32_e32 v25, v25
	v_cndmask_b32_e32 v21, v28, v21, vcc
	v_mul_f32_e32 v7, v64, v50
	v_fmac_f32_e32 v7, v22, v21
	v_ldexp_f32 v21, v24, v25
	v_cmp_ngt_f32_e32 vcc, s0, v8
	v_cndmask_b32_e32 v21, 0, v21, vcc
	v_cmp_nlt_f32_e32 vcc, s2, v8
	v_mul_f32_e32 v8, 0x3fb8aa3b, v1
	v_fma_f32 v22, v1, s1, -v8
	v_rndne_f32_e32 v24, v8
	v_fmac_f32_e32 v22, 0x32a5705f, v1
	v_sub_f32_e32 v8, v8, v24
	v_add_f32_e32 v8, v8, v22
	v_exp_f32_e32 v22, v8
	v_cvt_i32_f32_e32 v24, v24
	v_cndmask_b32_e32 v21, v28, v21, vcc
	v_mul_f32_e32 v8, v64, v51
	v_fmac_f32_e32 v8, v23, v21
	v_ldexp_f32 v21, v22, v24
	v_cmp_ngt_f32_e32 vcc, s0, v1
	v_cndmask_b32_e32 v21, 0, v21, vcc
	v_cmp_nlt_f32_e32 vcc, s2, v1
	v_mul_f32_e32 v1, 0x3fb8aa3b, v2
	;; [unrolled: 15-line block ×3, first 2 shown]
	v_fma_f32 v21, v3, s1, -v2
	v_rndne_f32_e32 v22, v2
	v_fmac_f32_e32 v21, 0x32a5705f, v3
	v_sub_f32_e32 v2, v2, v22
	v_add_f32_e32 v2, v2, v21
	v_exp_f32_e32 v21, v2
	v_cvt_i32_f32_e32 v22, v22
	v_cndmask_b32_e32 v17, v28, v17, vcc
	v_mul_f32_e32 v2, v64, v53
	v_fmac_f32_e32 v2, v18, v17
	v_ldexp_f32 v17, v21, v22
	v_cmp_ngt_f32_e32 vcc, s0, v3
	v_mul_f32_e32 v0, v0, v4
	v_cndmask_b32_e32 v17, 0, v17, vcc
	v_cmp_nlt_f32_e32 vcc, s2, v3
	v_mul_f32_e32 v3, 0x3fb8aa3b, v0
	v_fma_f32 v4, v0, s1, -v3
	v_rndne_f32_e32 v18, v3
	v_fmac_f32_e32 v4, 0x32a5705f, v0
	v_sub_f32_e32 v3, v3, v18
	v_add_f32_e32 v3, v3, v4
	v_exp_f32_e32 v4, v3
	v_cvt_i32_f32_e32 v18, v18
	v_fmac_f32_e32 v31, v26, v7
	s_addc_u32 s6, s23, s37
	v_fmac_f32_e32 v31, v27, v8
	v_cndmask_b32_e32 v17, v28, v17, vcc
	v_mul_f32_e32 v3, v64, v54
	v_ldexp_f32 v4, v4, v18
	v_cmp_ngt_f32_e32 vcc, s0, v0
	s_add_u32 s3, s3, s5
	s_waitcnt lgkmcnt(0)
	v_fmac_f32_e32 v31, v35, v1
	v_fmac_f32_e32 v3, v19, v17
	v_cndmask_b32_e32 v4, 0, v4, vcc
	v_cmp_nlt_f32_e32 vcc, s2, v0
	v_mad_i64_i32 v[17:18], s[0:1], s4, 20, v[29:30]
	s_addc_u32 s5, s6, 0
	v_fmac_f32_e32 v31, v36, v2
	v_cndmask_b32_e32 v0, v28, v4, vcc
	v_mul_f32_e32 v4, v64, v55
	v_fmac_f32_e32 v31, v37, v3
	v_fmac_f32_e32 v4, v20, v0
	s_add_u32 s0, s3, s34
	v_fmac_f32_e32 v31, v38, v4
	s_addc_u32 s1, s5, s33
	global_store_dword v[17:18], v31, off
	v_mov_b32_e32 v0, s1
	v_add_co_u32_e32 v17, vcc, s0, v33
	v_addc_co_u32_e32 v18, vcc, v0, v34, vcc
	s_waitcnt vmcnt(0)
	s_barrier
	global_store_dwordx4 v[17:18], v[13:16], off
	global_store_dwordx4 v[17:18], v[9:12], off offset:16
	global_store_dwordx4 v[17:18], v[5:8], off offset:32
	;; [unrolled: 1-line block ×3, first 2 shown]
	s_endpgm
	.section	.rodata,"a",@progbits
	.p2align	6, 0x0
	.amdhsa_kernel _Z12ssm_scan_f32ILm128ELm16ELm6EEvPKfS1_S1_S1_S1_S1_PKiPfiiiiiiiiiiilll
		.amdhsa_group_segment_fixed_size 128
		.amdhsa_private_segment_fixed_size 0
		.amdhsa_kernarg_size 136
		.amdhsa_user_sgpr_count 6
		.amdhsa_user_sgpr_private_segment_buffer 1
		.amdhsa_user_sgpr_dispatch_ptr 0
		.amdhsa_user_sgpr_queue_ptr 0
		.amdhsa_user_sgpr_kernarg_segment_ptr 1
		.amdhsa_user_sgpr_dispatch_id 0
		.amdhsa_user_sgpr_flat_scratch_init 0
		.amdhsa_user_sgpr_private_segment_size 0
		.amdhsa_uses_dynamic_stack 0
		.amdhsa_system_sgpr_private_segment_wavefront_offset 0
		.amdhsa_system_sgpr_workgroup_id_x 1
		.amdhsa_system_sgpr_workgroup_id_y 1
		.amdhsa_system_sgpr_workgroup_id_z 0
		.amdhsa_system_sgpr_workgroup_info 0
		.amdhsa_system_vgpr_workitem_id 0
		.amdhsa_next_free_vgpr 79
		.amdhsa_next_free_sgpr 44
		.amdhsa_reserve_vcc 1
		.amdhsa_reserve_flat_scratch 0
		.amdhsa_float_round_mode_32 0
		.amdhsa_float_round_mode_16_64 0
		.amdhsa_float_denorm_mode_32 3
		.amdhsa_float_denorm_mode_16_64 3
		.amdhsa_dx10_clamp 1
		.amdhsa_ieee_mode 1
		.amdhsa_fp16_overflow 0
		.amdhsa_exception_fp_ieee_invalid_op 0
		.amdhsa_exception_fp_denorm_src 0
		.amdhsa_exception_fp_ieee_div_zero 0
		.amdhsa_exception_fp_ieee_overflow 0
		.amdhsa_exception_fp_ieee_underflow 0
		.amdhsa_exception_fp_ieee_inexact 0
		.amdhsa_exception_int_div_zero 0
	.end_amdhsa_kernel
	.section	.text._Z12ssm_scan_f32ILm128ELm16ELm6EEvPKfS1_S1_S1_S1_S1_PKiPfiiiiiiiiiiilll,"axG",@progbits,_Z12ssm_scan_f32ILm128ELm16ELm6EEvPKfS1_S1_S1_S1_S1_PKiPfiiiiiiiiiiilll,comdat
.Lfunc_end7:
	.size	_Z12ssm_scan_f32ILm128ELm16ELm6EEvPKfS1_S1_S1_S1_S1_PKiPfiiiiiiiiiiilll, .Lfunc_end7-_Z12ssm_scan_f32ILm128ELm16ELm6EEvPKfS1_S1_S1_S1_S1_PKiPfiiiiiiiiiiilll
                                        ; -- End function
	.set _Z12ssm_scan_f32ILm128ELm16ELm6EEvPKfS1_S1_S1_S1_S1_PKiPfiiiiiiiiiiilll.num_vgpr, 79
	.set _Z12ssm_scan_f32ILm128ELm16ELm6EEvPKfS1_S1_S1_S1_S1_PKiPfiiiiiiiiiiilll.num_agpr, 0
	.set _Z12ssm_scan_f32ILm128ELm16ELm6EEvPKfS1_S1_S1_S1_S1_PKiPfiiiiiiiiiiilll.numbered_sgpr, 44
	.set _Z12ssm_scan_f32ILm128ELm16ELm6EEvPKfS1_S1_S1_S1_S1_PKiPfiiiiiiiiiiilll.num_named_barrier, 0
	.set _Z12ssm_scan_f32ILm128ELm16ELm6EEvPKfS1_S1_S1_S1_S1_PKiPfiiiiiiiiiiilll.private_seg_size, 0
	.set _Z12ssm_scan_f32ILm128ELm16ELm6EEvPKfS1_S1_S1_S1_S1_PKiPfiiiiiiiiiiilll.uses_vcc, 1
	.set _Z12ssm_scan_f32ILm128ELm16ELm6EEvPKfS1_S1_S1_S1_S1_PKiPfiiiiiiiiiiilll.uses_flat_scratch, 0
	.set _Z12ssm_scan_f32ILm128ELm16ELm6EEvPKfS1_S1_S1_S1_S1_PKiPfiiiiiiiiiiilll.has_dyn_sized_stack, 0
	.set _Z12ssm_scan_f32ILm128ELm16ELm6EEvPKfS1_S1_S1_S1_S1_PKiPfiiiiiiiiiiilll.has_recursion, 0
	.set _Z12ssm_scan_f32ILm128ELm16ELm6EEvPKfS1_S1_S1_S1_S1_PKiPfiiiiiiiiiiilll.has_indirect_call, 0
	.section	.AMDGPU.csdata,"",@progbits
; Kernel info:
; codeLenInByte = 15916
; TotalNumSgprs: 48
; NumVgprs: 79
; ScratchSize: 0
; MemoryBound: 0
; FloatMode: 240
; IeeeMode: 1
; LDSByteSize: 128 bytes/workgroup (compile time only)
; SGPRBlocks: 5
; VGPRBlocks: 19
; NumSGPRsForWavesPerEU: 48
; NumVGPRsForWavesPerEU: 79
; Occupancy: 3
; WaveLimiterHint : 1
; COMPUTE_PGM_RSRC2:SCRATCH_EN: 0
; COMPUTE_PGM_RSRC2:USER_SGPR: 6
; COMPUTE_PGM_RSRC2:TRAP_HANDLER: 0
; COMPUTE_PGM_RSRC2:TGID_X_EN: 1
; COMPUTE_PGM_RSRC2:TGID_Y_EN: 1
; COMPUTE_PGM_RSRC2:TGID_Z_EN: 0
; COMPUTE_PGM_RSRC2:TIDIG_COMP_CNT: 0
	.section	.text._Z12ssm_scan_f32ILm128ELm16ELm7EEvPKfS1_S1_S1_S1_S1_PKiPfiiiiiiiiiiilll,"axG",@progbits,_Z12ssm_scan_f32ILm128ELm16ELm7EEvPKfS1_S1_S1_S1_S1_PKiPfiiiiiiiiiiilll,comdat
	.protected	_Z12ssm_scan_f32ILm128ELm16ELm7EEvPKfS1_S1_S1_S1_S1_PKiPfiiiiiiiiiiilll ; -- Begin function _Z12ssm_scan_f32ILm128ELm16ELm7EEvPKfS1_S1_S1_S1_S1_PKiPfiiiiiiiiiiilll
	.globl	_Z12ssm_scan_f32ILm128ELm16ELm7EEvPKfS1_S1_S1_S1_S1_PKiPfiiiiiiiiiiilll
	.p2align	8
	.type	_Z12ssm_scan_f32ILm128ELm16ELm7EEvPKfS1_S1_S1_S1_S1_PKiPfiiiiiiiiiiilll,@function
_Z12ssm_scan_f32ILm128ELm16ELm7EEvPKfS1_S1_S1_S1_S1_PKiPfiiiiiiiiiiilll: ; @_Z12ssm_scan_f32ILm128ELm16ELm7EEvPKfS1_S1_S1_S1_S1_PKiPfiiiiiiiiiiilll
; %bb.0:
	s_load_dwordx16 s[8:23], s[4:5], 0x0
	s_load_dwordx8 s[24:31], s[4:5], 0x40
	s_mov_b32 s2, s7
	s_mov_b32 s7, 0
	s_lshl_b64 s[0:1], s[6:7], 2
	s_waitcnt lgkmcnt(0)
	s_add_u32 s0, s20, s0
	s_addc_u32 s1, s21, s1
	s_load_dword s0, s[0:1], 0x0
	v_mov_b32_e32 v2, 0
	s_load_dwordx4 s[40:43], s[4:5], 0x60
	s_waitcnt lgkmcnt(0)
	s_mul_i32 s0, s0, s25
	s_ashr_i32 s1, s0, 31
	s_add_u32 s0, s8, s0
	s_addc_u32 s1, s9, s1
	s_lshl_b32 s3, s2, 7
	s_ashr_i32 s8, s24, 31
	s_mul_i32 s8, s3, s8
	s_mul_hi_u32 s9, s3, s24
	s_add_i32 s8, s9, s8
	s_lshr_b32 s9, s2, 25
	s_mul_i32 s20, s9, s24
	s_add_i32 s33, s8, s20
	s_mul_i32 s34, s3, s24
	s_add_u32 s0, s0, s34
	s_addc_u32 s1, s1, s33
	s_ashr_i32 s8, s30, 31
	s_mul_i32 s8, s3, s8
	s_mul_hi_u32 s20, s3, s30
	s_add_i32 s8, s20, s8
	s_mul_i32 s9, s9, s30
	s_add_i32 s8, s8, s9
	s_mul_i32 s3, s3, s30
	s_add_u32 s3, s14, s3
	s_addc_u32 s8, s15, s8
	s_ashr_i32 s9, s30, 2
	v_mul_lo_u32 v1, s9, v0
	s_ashr_i32 s9, s24, 2
	v_mov_b32_e32 v5, s8
	v_lshlrev_b64 v[3:4], 2, v[1:2]
	v_mul_lo_u32 v1, s9, v0
	v_add_co_u32_e32 v35, vcc, s3, v3
	v_addc_co_u32_e32 v36, vcc, v5, v4, vcc
	v_lshlrev_b64 v[33:34], 2, v[1:2]
	v_mov_b32_e32 v1, s1
	v_add_co_u32_e32 v37, vcc, s0, v33
	v_addc_co_u32_e32 v38, vcc, v1, v34, vcc
	global_load_dwordx4 v[1:4], v[35:36], off offset:48
	global_load_dwordx4 v[5:8], v[35:36], off offset:32
	global_load_dwordx4 v[9:12], v[35:36], off offset:16
	global_load_dwordx4 v[13:16], v[35:36], off
	global_load_dwordx4 v[17:20], v[37:38], off offset:48
	global_load_dwordx4 v[21:24], v[37:38], off offset:32
	;; [unrolled: 1-line block ×3, first 2 shown]
	global_load_dwordx4 v[29:32], v[37:38], off
	s_mul_i32 s0, s40, s6
	s_add_u32 s0, s16, s0
	s_mov_b32 s3, s7
	s_mul_i32 s1, s42, s6
	s_addc_u32 s7, s17, 0
	v_cmp_gt_u32_e32 vcc, 16, v0
	v_lshlrev_b32_e32 v0, 2, v0
	s_add_u32 s8, s18, s1
	v_mov_b32_e32 v36, s7
	v_add_co_u32_e64 v35, s[0:1], s0, v0
	s_addc_u32 s9, s19, 0
	v_addc_co_u32_e64 v36, s[0:1], 0, v36, s[0:1]
	v_mov_b32_e32 v38, s9
	v_add_co_u32_e64 v37, s[0:1], s8, v0
	v_addc_co_u32_e64 v38, s[0:1], 0, v38, s[0:1]
	v_add_u32_e32 v41, 64, v0
	s_and_saveexec_b64 s[0:1], vcc
	s_cbranch_execz .LBB8_2
; %bb.1:
	global_load_dword v39, v[35:36], off
	global_load_dword v40, v[37:38], off
	s_waitcnt vmcnt(1)
	ds_write_b32 v0, v39
	s_waitcnt vmcnt(0)
	ds_write_b32 v41, v40
.LBB8_2:
	s_or_b64 exec, exec, s[0:1]
	s_lshl_b64 s[2:3], s[2:3], 9
	s_mul_i32 s0, s29, s6
	s_add_u32 s0, s12, s0
	s_addc_u32 s1, s13, 0
	s_add_u32 s0, s0, s2
	s_addc_u32 s1, s1, s3
	s_waitcnt vmcnt(0) lgkmcnt(0)
	s_barrier
	global_load_dword v45, v0, s[0:1]
	v_mov_b32_e32 v39, s1
	v_add_co_u32_e64 v42, s[0:1], s0, v0
	v_addc_co_u32_e64 v44, s[0:1], 0, v39, s[0:1]
	s_mov_b32 s0, 0x41a00000
	s_waitcnt vmcnt(0)
	v_cmp_ge_f32_e64 s[0:1], s0, v45
	s_and_saveexec_b64 s[8:9], s[0:1]
	s_cbranch_execz .LBB8_4
; %bb.3:
	v_mul_f32_e32 v39, 0x3fb8aa3b, v45
	s_mov_b32 s0, 0x3fb8aa3b
	v_rndne_f32_e32 v40, v39
	v_sub_f32_e32 v43, v39, v40
	v_fma_f32 v39, v45, s0, -v39
	v_fmac_f32_e32 v39, 0x32a5705f, v45
	v_add_f32_e32 v39, v43, v39
	v_exp_f32_e32 v39, v39
	v_cvt_i32_f32_e32 v40, v40
	s_mov_b32 s0, 0xc2ce8ed0
	v_cmp_ngt_f32_e64 s[0:1], s0, v45
	v_mov_b32_e32 v43, 0x7f800000
	v_ldexp_f32 v39, v39, v40
	v_cndmask_b32_e64 v39, 0, v39, s[0:1]
	s_mov_b32 s0, 0x42b17218
	v_cmp_nlt_f32_e64 s[0:1], s0, v45
	v_cndmask_b32_e64 v45, v43, v39, s[0:1]
	v_add_f32_e32 v46, 1.0, v45
	v_cvt_f64_f32_e32 v[39:40], v46
	v_add_f32_e32 v47, -1.0, v46
	v_sub_f32_e32 v48, v47, v46
	v_sub_f32_e32 v47, v45, v47
	v_frexp_exp_i32_f64_e32 v39, v[39:40]
	v_add_f32_e32 v40, 1.0, v48
	v_add_f32_e32 v40, v47, v40
	v_frexp_mant_f32_e32 v47, v46
	s_mov_b32 s0, 0x3f2aaaab
	v_cmp_gt_f32_e64 s[0:1], s0, v47
	s_mov_b32 s7, 0x7f800000
	v_subbrev_co_u32_e64 v39, s[0:1], 0, v39, s[0:1]
	v_sub_u32_e32 v47, 0, v39
	v_ldexp_f32 v46, v46, v47
	v_ldexp_f32 v40, v40, v47
	v_add_f32_e32 v47, -1.0, v46
	v_add_f32_e32 v50, 1.0, v46
	v_add_f32_e32 v48, 1.0, v47
	v_add_f32_e32 v51, -1.0, v50
	v_sub_f32_e32 v48, v46, v48
	v_sub_f32_e32 v46, v46, v51
	v_add_f32_e32 v48, v40, v48
	v_add_f32_e32 v40, v40, v46
	;; [unrolled: 1-line block ×3, first 2 shown]
	v_rcp_f32_e32 v51, v46
	v_add_f32_e32 v49, v47, v48
	v_sub_f32_e32 v47, v47, v49
	v_add_f32_e32 v47, v48, v47
	v_sub_f32_e32 v48, v50, v46
	v_add_f32_e32 v40, v40, v48
	v_mul_f32_e32 v48, v49, v51
	v_mul_f32_e32 v50, v46, v48
	v_fma_f32 v52, v48, v46, -v50
	v_fmac_f32_e32 v52, v48, v40
	v_add_f32_e32 v53, v50, v52
	v_sub_f32_e32 v54, v49, v53
	v_sub_f32_e32 v49, v49, v54
	;; [unrolled: 1-line block ×4, first 2 shown]
	v_add_f32_e32 v47, v47, v49
	v_sub_f32_e32 v49, v50, v52
	v_add_f32_e32 v47, v49, v47
	v_add_f32_e32 v49, v54, v47
	v_mul_f32_e32 v50, v51, v49
	v_mul_f32_e32 v52, v46, v50
	v_fma_f32 v46, v50, v46, -v52
	v_fmac_f32_e32 v46, v50, v40
	v_sub_f32_e32 v40, v54, v49
	v_add_f32_e32 v40, v47, v40
	v_add_f32_e32 v47, v52, v46
	v_sub_f32_e32 v53, v49, v47
	v_sub_f32_e32 v49, v49, v53
	;; [unrolled: 1-line block ×4, first 2 shown]
	v_add_f32_e32 v40, v40, v47
	v_sub_f32_e32 v46, v52, v46
	v_add_f32_e32 v40, v46, v40
	v_add_f32_e32 v46, v48, v50
	;; [unrolled: 1-line block ×3, first 2 shown]
	v_sub_f32_e32 v47, v46, v48
	v_mul_f32_e32 v40, v51, v40
	v_sub_f32_e32 v47, v50, v47
	v_add_f32_e32 v40, v47, v40
	v_cvt_f32_i32_e32 v39, v39
	v_add_f32_e32 v47, v46, v40
	v_mul_f32_e32 v48, v47, v47
	v_mov_b32_e32 v49, 0x3ecc95a3
	v_fmac_f32_e32 v49, 0x3e9b6dac, v48
	v_mov_b32_e32 v50, 0x3f2aaada
	v_fmac_f32_e32 v50, v48, v49
	s_mov_b32 s0, 0x3f317218
	v_mul_f32_e32 v49, 0x3f317218, v39
	v_fma_f32 v51, v39, s0, -v49
	v_fmac_f32_e32 v51, 0xb102e308, v39
	v_sub_f32_e32 v39, v47, v46
	v_sub_f32_e32 v39, v40, v39
	v_add_f32_e32 v40, v49, v51
	v_sub_f32_e32 v46, v40, v49
	v_ldexp_f32 v49, v47, 1
	v_mul_f32_e32 v47, v47, v48
	v_mul_f32_e32 v47, v47, v50
	v_add_f32_e32 v48, v49, v47
	v_sub_f32_e32 v49, v48, v49
	v_ldexp_f32 v39, v39, 1
	v_sub_f32_e32 v47, v47, v49
	v_add_f32_e32 v39, v39, v47
	v_add_f32_e32 v47, v48, v39
	v_sub_f32_e32 v48, v47, v48
	v_sub_f32_e32 v39, v39, v48
	v_add_f32_e32 v48, v40, v47
	v_sub_f32_e32 v49, v48, v40
	v_sub_f32_e32 v50, v48, v49
	;; [unrolled: 1-line block ×5, first 2 shown]
	v_add_f32_e32 v40, v47, v40
	v_add_f32_e32 v47, v46, v39
	v_sub_f32_e32 v49, v47, v46
	v_sub_f32_e32 v50, v47, v49
	;; [unrolled: 1-line block ×4, first 2 shown]
	v_add_f32_e32 v40, v47, v40
	v_add_f32_e32 v39, v39, v46
	;; [unrolled: 1-line block ×3, first 2 shown]
	v_sub_f32_e32 v47, v46, v48
	v_sub_f32_e32 v40, v40, v47
	v_add_f32_e32 v39, v39, v40
	v_add_f32_e32 v39, v46, v39
	v_cmp_neq_f32_e64 s[0:1], s7, v45
	v_cndmask_b32_e64 v39, v43, v39, s[0:1]
	s_mov_b32 s0, 0x33800000
	v_cmp_gt_f32_e64 s[0:1], s0, v45
	v_cndmask_b32_e64 v45, v39, v45, s[0:1]
.LBB8_4:
	s_or_b64 exec, exec, s[8:9]
	s_load_dwordx4 s[36:39], s[4:5], 0x70
	s_mul_i32 s0, s27, s6
	v_mul_f32_e32 v39, v45, v13
	s_mov_b32 s9, 0x3fb8aa3b
	v_mul_f32_e32 v40, v45, v14
	s_waitcnt lgkmcnt(0)
	s_mul_i32 s1, s6, s39
	s_mul_hi_u32 s4, s6, s38
	s_mul_i32 s5, s6, s38
	s_add_i32 s1, s4, s1
	s_mul_hi_u32 s4, s5, 28
	s_mul_i32 s1, s1, 28
	s_add_i32 s4, s4, s1
	s_mul_i32 s5, s5, 28
	s_add_u32 s13, s22, s5
	s_addc_u32 s12, s23, s4
	s_ashr_i32 s18, s31, 2
	s_add_u32 s0, s10, s0
	s_addc_u32 s1, s11, 0
	s_add_u32 s4, s0, s2
	s_addc_u32 s5, s1, s3
	global_load_dword v43, v0, s[4:5]
	v_mul_f32_e32 v62, 0x3fb8aa3b, v39
	v_mul_f32_e32 v47, v45, v15
	v_mul_f32_e32 v63, 0x3fb8aa3b, v40
	v_fma_f32 v66, v39, s9, -v62
	v_rndne_f32_e32 v67, v62
	v_mul_f32_e32 v48, v45, v16
	v_mul_f32_e32 v64, 0x3fb8aa3b, v47
	v_fma_f32 v68, v40, s9, -v63
	v_rndne_f32_e32 v69, v63
	v_fmac_f32_e32 v66, 0x32a5705f, v39
	v_sub_f32_e32 v62, v62, v67
	v_mul_f32_e32 v65, 0x3fb8aa3b, v48
	v_fma_f32 v70, v47, s9, -v64
	v_rndne_f32_e32 v71, v64
	v_fmac_f32_e32 v68, 0x32a5705f, v40
	v_sub_f32_e32 v63, v63, v69
	v_add_f32_e32 v62, v62, v66
	v_fma_f32 v72, v48, s9, -v65
	v_rndne_f32_e32 v73, v65
	v_fmac_f32_e32 v70, 0x32a5705f, v47
	v_sub_f32_e32 v64, v64, v71
	v_cvt_i32_f32_e32 v67, v67
	v_add_f32_e32 v63, v63, v68
	v_exp_f32_e32 v62, v62
	v_fmac_f32_e32 v72, 0x32a5705f, v48
	v_sub_f32_e32 v65, v65, v73
	v_cvt_i32_f32_e32 v69, v69
	v_add_f32_e32 v64, v64, v70
	v_exp_f32_e32 v63, v63
	v_cvt_i32_f32_e32 v71, v71
	v_add_f32_e32 v65, v65, v72
	v_exp_f32_e32 v64, v64
	s_mov_b32 s7, 0xc2ce8ed0
	v_cvt_i32_f32_e32 v73, v73
	v_exp_f32_e32 v65, v65
	v_ldexp_f32 v62, v62, v67
	v_cmp_ngt_f32_e64 s[0:1], s7, v39
	v_ldexp_f32 v63, v63, v69
	v_cndmask_b32_e64 v62, 0, v62, s[0:1]
	v_cmp_ngt_f32_e64 s[0:1], s7, v40
	v_ldexp_f32 v64, v64, v71
	v_cndmask_b32_e64 v63, 0, v63, s[0:1]
	v_cmp_ngt_f32_e64 s[0:1], s7, v47
	v_mov_b32_e32 v53, 0
	s_mov_b32 s8, 0x42b17218
	v_ldexp_f32 v65, v65, v73
	v_cndmask_b32_e64 v64, 0, v64, s[0:1]
	v_cmp_ngt_f32_e64 s[0:1], s7, v48
	v_mov_b32_e32 v46, 0x7f800000
	ds_read_b128 v[49:52], v53
	ds_read_b128 v[54:57], v53 offset:16
	ds_read_b128 v[58:61], v53 offset:64
	v_cndmask_b32_e64 v65, 0, v65, s[0:1]
	v_cmp_nlt_f32_e64 s[0:1], s8, v39
	v_cndmask_b32_e64 v62, v46, v62, s[0:1]
	v_cmp_nlt_f32_e64 s[0:1], s8, v40
	;; [unrolled: 2-line block ×4, first 2 shown]
	v_cndmask_b32_e64 v65, v46, v65, s[0:1]
	v_mov_b32_e32 v40, s5
	s_add_u32 s2, s13, s2
	v_add_co_u32_e64 v39, s[0:1], s4, v0
	v_addc_co_u32_e64 v40, s[0:1], 0, v40, s[0:1]
	s_addc_u32 s3, s12, s3
	v_mov_b32_e32 v66, s3
	s_ashr_i32 s20, s41, 2
	s_ashr_i32 s19, s18, 31
	;; [unrolled: 1-line block ×3, first 2 shown]
	s_waitcnt vmcnt(0)
	v_mul_f32_e32 v67, v45, v43
	s_waitcnt lgkmcnt(2)
	v_mul_f32_e32 v48, v67, v51
	v_mul_f32_e32 v47, v67, v52
	v_fmac_f32_e32 v48, v31, v64
	v_mul_f32_e32 v31, v45, v9
	v_fmac_f32_e32 v47, v32, v65
	v_mul_f32_e32 v32, 0x3fb8aa3b, v31
	v_fma_f32 v43, v31, s9, -v32
	v_rndne_f32_e32 v51, v32
	v_fmac_f32_e32 v43, 0x32a5705f, v31
	v_sub_f32_e32 v32, v32, v51
	v_add_f32_e32 v32, v32, v43
	v_exp_f32_e32 v32, v32
	v_cvt_i32_f32_e32 v43, v51
	v_mul_f32_e32 v49, v67, v49
	v_mul_f32_e32 v50, v67, v50
	v_fmac_f32_e32 v49, v29, v62
	v_ldexp_f32 v32, v32, v43
	v_mul_f32_e32 v43, v45, v10
	v_add_co_u32_e64 v29, s[0:1], s2, v0
	v_mul_f32_e32 v51, 0x3fb8aa3b, v43
	v_fmac_f32_e32 v50, v30, v63
	v_addc_co_u32_e64 v30, s[0:1], 0, v66, s[0:1]
	s_waitcnt lgkmcnt(0)
	v_fma_f32 v66, v58, v49, 0
	v_fma_f32 v52, v43, s9, -v51
	v_rndne_f32_e32 v58, v51
	v_fmac_f32_e32 v52, 0x32a5705f, v43
	v_sub_f32_e32 v51, v51, v58
	v_add_f32_e32 v51, v51, v52
	v_cmp_ngt_f32_e64 s[0:1], s7, v31
	v_exp_f32_e32 v51, v51
	v_cvt_i32_f32_e32 v52, v58
	v_cndmask_b32_e64 v32, 0, v32, s[0:1]
	v_cmp_nlt_f32_e64 s[0:1], s8, v31
	v_cndmask_b32_e64 v32, v46, v32, s[0:1]
	v_mul_f32_e32 v31, v67, v54
	v_fmac_f32_e32 v31, v25, v32
	v_mul_f32_e32 v32, v45, v11
	v_ldexp_f32 v25, v51, v52
	v_mul_f32_e32 v51, 0x3fb8aa3b, v32
	v_fma_f32 v52, v32, s9, -v51
	v_rndne_f32_e32 v54, v51
	v_fmac_f32_e32 v52, 0x32a5705f, v32
	v_sub_f32_e32 v51, v51, v54
	v_cmp_ngt_f32_e64 s[0:1], s7, v43
	v_add_f32_e32 v51, v51, v52
	v_cndmask_b32_e64 v25, 0, v25, s[0:1]
	v_exp_f32_e32 v52, v51
	v_cvt_i32_f32_e32 v54, v54
	v_cmp_nlt_f32_e64 s[0:1], s8, v43
	v_cndmask_b32_e64 v25, v46, v25, s[0:1]
	v_mul_f32_e32 v51, v67, v55
	v_fmac_f32_e32 v51, v26, v25
	v_mul_f32_e32 v26, v45, v12
	v_mul_f32_e32 v43, 0x3fb8aa3b, v26
	v_ldexp_f32 v25, v52, v54
	v_fma_f32 v52, v26, s9, -v43
	v_rndne_f32_e32 v54, v43
	v_fmac_f32_e32 v52, 0x32a5705f, v26
	v_sub_f32_e32 v43, v43, v54
	v_add_f32_e32 v43, v43, v52
	v_exp_f32_e32 v43, v43
	v_cvt_i32_f32_e32 v54, v54
	v_cmp_ngt_f32_e64 s[0:1], s7, v32
	v_cndmask_b32_e64 v25, 0, v25, s[0:1]
	v_cmp_nlt_f32_e64 s[0:1], s8, v32
	v_cndmask_b32_e64 v25, v46, v25, s[0:1]
	v_mul_f32_e32 v52, v67, v56
	v_fmac_f32_e32 v52, v27, v25
	v_ldexp_f32 v27, v43, v54
	v_cmp_ngt_f32_e64 s[0:1], s7, v26
	v_cndmask_b32_e64 v27, 0, v27, s[0:1]
	v_cmp_nlt_f32_e64 s[0:1], s8, v26
	v_mul_f32_e32 v25, v67, v57
	v_cndmask_b32_e64 v26, v46, v27, s[0:1]
	v_fmac_f32_e32 v25, v28, v26
	v_mul_f32_e32 v26, v45, v5
	v_mul_f32_e32 v27, 0x3fb8aa3b, v26
	v_fma_f32 v28, v26, s9, -v27
	v_rndne_f32_e32 v32, v27
	v_fmac_f32_e32 v28, 0x32a5705f, v26
	v_sub_f32_e32 v27, v27, v32
	v_add_f32_e32 v27, v27, v28
	v_exp_f32_e32 v27, v27
	v_cvt_i32_f32_e32 v28, v32
	ds_read_b128 v[62:65], v53 offset:80
	v_mul_f32_e32 v32, v45, v6
	ds_read_b128 v[54:57], v53 offset:32
	v_ldexp_f32 v27, v27, v28
	v_mul_f32_e32 v28, 0x3fb8aa3b, v32
	v_fmac_f32_e32 v66, v59, v50
	v_fma_f32 v43, v32, s9, -v28
	v_rndne_f32_e32 v58, v28
	v_fmac_f32_e32 v66, v60, v48
	v_fmac_f32_e32 v43, 0x32a5705f, v32
	v_sub_f32_e32 v28, v28, v58
	v_fmac_f32_e32 v66, v61, v47
	v_cmp_ngt_f32_e64 s[0:1], s7, v26
	v_add_f32_e32 v28, v28, v43
	s_waitcnt lgkmcnt(1)
	v_fmac_f32_e32 v66, v62, v31
	v_cndmask_b32_e64 v27, 0, v27, s[0:1]
	v_exp_f32_e32 v43, v28
	v_cvt_i32_f32_e32 v62, v58
	v_cmp_nlt_f32_e64 s[0:1], s8, v26
	v_cndmask_b32_e64 v26, v46, v27, s[0:1]
	ds_read_b128 v[58:61], v53 offset:48
	s_waitcnt lgkmcnt(1)
	v_mul_f32_e32 v28, v67, v54
	v_fmac_f32_e32 v28, v21, v26
	v_mul_f32_e32 v26, v45, v7
	v_mul_f32_e32 v27, 0x3fb8aa3b, v26
	v_ldexp_f32 v21, v43, v62
	v_fma_f32 v43, v26, s9, -v27
	v_rndne_f32_e32 v54, v27
	v_fmac_f32_e32 v43, 0x32a5705f, v26
	v_sub_f32_e32 v27, v27, v54
	v_add_f32_e32 v27, v27, v43
	v_exp_f32_e32 v27, v27
	v_cvt_i32_f32_e32 v54, v54
	v_cmp_ngt_f32_e64 s[0:1], s7, v32
	v_cndmask_b32_e64 v21, 0, v21, s[0:1]
	v_cmp_nlt_f32_e64 s[0:1], s8, v32
	v_cndmask_b32_e64 v21, v46, v21, s[0:1]
	v_mul_f32_e32 v43, v67, v55
	v_fmac_f32_e32 v43, v22, v21
	v_ldexp_f32 v21, v27, v54
	v_cmp_ngt_f32_e64 s[0:1], s7, v26
	v_mul_f32_e32 v22, v45, v8
	v_cndmask_b32_e64 v21, 0, v21, s[0:1]
	v_cmp_nlt_f32_e64 s[0:1], s8, v26
	v_mul_f32_e32 v26, 0x3fb8aa3b, v22
	v_fma_f32 v27, v22, s9, -v26
	v_rndne_f32_e32 v32, v26
	v_fmac_f32_e32 v27, 0x32a5705f, v22
	v_sub_f32_e32 v26, v26, v32
	v_add_f32_e32 v26, v26, v27
	v_exp_f32_e32 v62, v26
	v_cvt_i32_f32_e32 v32, v32
	v_cndmask_b32_e64 v21, v46, v21, s[0:1]
	v_mul_f32_e32 v27, v67, v56
	v_fmac_f32_e32 v27, v23, v21
	v_ldexp_f32 v21, v62, v32
	v_cmp_ngt_f32_e64 s[0:1], s7, v22
	v_cndmask_b32_e64 v21, 0, v21, s[0:1]
	v_cmp_nlt_f32_e64 s[0:1], s8, v22
	v_mul_f32_e32 v26, v67, v57
	v_cndmask_b32_e64 v21, v46, v21, s[0:1]
	v_fmac_f32_e32 v26, v24, v21
	v_mul_f32_e32 v21, v45, v1
	v_mul_f32_e32 v22, 0x3fb8aa3b, v21
	v_fma_f32 v23, v21, s9, -v22
	v_rndne_f32_e32 v24, v22
	v_fmac_f32_e32 v23, 0x32a5705f, v21
	v_sub_f32_e32 v22, v22, v24
	v_add_f32_e32 v22, v22, v23
	v_exp_f32_e32 v22, v22
	v_cvt_i32_f32_e32 v23, v24
	v_fmac_f32_e32 v66, v63, v51
	v_fmac_f32_e32 v66, v64, v52
	v_fmac_f32_e32 v66, v65, v25
	v_ldexp_f32 v22, v22, v23
	v_mul_f32_e32 v23, v45, v2
	v_mul_f32_e32 v24, 0x3fb8aa3b, v23
	ds_read_b128 v[54:57], v53 offset:96
	ds_read_b128 v[62:65], v53 offset:112
	v_fma_f32 v32, v23, s9, -v24
	v_rndne_f32_e32 v53, v24
	v_fmac_f32_e32 v32, 0x32a5705f, v23
	v_sub_f32_e32 v24, v24, v53
	v_cmp_ngt_f32_e64 s[0:1], s7, v21
	v_add_f32_e32 v24, v24, v32
	v_cndmask_b32_e64 v22, 0, v22, s[0:1]
	v_exp_f32_e32 v32, v24
	v_cvt_i32_f32_e32 v53, v53
	v_cmp_nlt_f32_e64 s[0:1], s8, v21
	v_cndmask_b32_e64 v21, v46, v22, s[0:1]
	s_waitcnt lgkmcnt(2)
	v_mul_f32_e32 v24, v67, v58
	v_fmac_f32_e32 v24, v17, v21
	v_mul_f32_e32 v21, v45, v3
	v_mul_f32_e32 v22, 0x3fb8aa3b, v21
	v_ldexp_f32 v17, v32, v53
	v_fma_f32 v32, v21, s9, -v22
	v_rndne_f32_e32 v53, v22
	v_fmac_f32_e32 v32, 0x32a5705f, v21
	v_sub_f32_e32 v22, v22, v53
	v_add_f32_e32 v22, v22, v32
	v_cmp_ngt_f32_e64 s[0:1], s7, v23
	v_exp_f32_e32 v22, v22
	v_cvt_i32_f32_e32 v32, v53
	v_cndmask_b32_e64 v17, 0, v17, s[0:1]
	v_cmp_nlt_f32_e64 s[0:1], s8, v23
	v_cndmask_b32_e64 v17, v46, v17, s[0:1]
	v_mul_f32_e32 v53, v67, v59
	v_fmac_f32_e32 v53, v18, v17
	v_mul_f32_e32 v18, v45, v4
	v_ldexp_f32 v17, v22, v32
	v_mul_f32_e32 v22, 0x3fb8aa3b, v18
	v_fma_f32 v23, v18, s9, -v22
	v_rndne_f32_e32 v32, v22
	v_fmac_f32_e32 v23, 0x32a5705f, v18
	v_sub_f32_e32 v22, v22, v32
	v_add_f32_e32 v22, v22, v23
	v_exp_f32_e32 v23, v22
	v_cvt_i32_f32_e32 v32, v32
	s_waitcnt lgkmcnt(1)
	v_fmac_f32_e32 v66, v54, v28
	v_cmp_ngt_f32_e64 s[0:1], s7, v21
	v_fmac_f32_e32 v66, v55, v43
	v_cndmask_b32_e64 v17, 0, v17, s[0:1]
	v_cmp_nlt_f32_e64 s[0:1], s8, v21
	v_fmac_f32_e32 v66, v56, v27
	v_cndmask_b32_e64 v17, v46, v17, s[0:1]
	v_mul_f32_e32 v22, v67, v60
	v_fmac_f32_e32 v66, v57, v26
	v_fmac_f32_e32 v22, v19, v17
	v_ldexp_f32 v17, v23, v32
	v_cmp_ngt_f32_e64 s[0:1], s7, v18
	s_waitcnt lgkmcnt(0)
	v_fmac_f32_e32 v66, v62, v24
	v_cndmask_b32_e64 v17, 0, v17, s[0:1]
	v_cmp_nlt_f32_e64 s[0:1], s8, v18
	v_fmac_f32_e32 v66, v63, v53
	v_cndmask_b32_e64 v17, v46, v17, s[0:1]
	v_mul_f32_e32 v21, v67, v61
	v_fmac_f32_e32 v66, v64, v22
	v_fmac_f32_e32 v21, v20, v17
	;; [unrolled: 1-line block ×3, first 2 shown]
	global_store_dword v0, v66, s[2:3]
	s_waitcnt vmcnt(0)
	s_barrier
	s_and_saveexec_b64 s[2:3], vcc
	s_cbranch_execz .LBB8_6
; %bb.5:
	s_lshl_b64 s[0:1], s[18:19], 2
	v_mov_b32_e32 v18, s1
	v_add_co_u32_e64 v17, s[0:1], s0, v35
	v_addc_co_u32_e64 v18, s[0:1], v36, v18, s[0:1]
	s_lshl_b64 s[0:1], s[20:21], 2
	global_load_dword v19, v[17:18], off
	v_mov_b32_e32 v18, s1
	v_add_co_u32_e64 v17, s[0:1], s0, v37
	v_addc_co_u32_e64 v18, s[0:1], v38, v18, s[0:1]
	global_load_dword v17, v[17:18], off
	s_waitcnt vmcnt(1)
	ds_write_b32 v0, v19
	s_waitcnt vmcnt(0)
	ds_write_b32 v41, v17
.LBB8_6:
	s_or_b64 exec, exec, s[2:3]
	s_ashr_i32 s0, s28, 2
	s_ashr_i32 s1, s0, 31
	s_lshl_b64 s[28:29], s[0:1], 2
	v_mov_b32_e32 v18, s29
	v_add_co_u32_e64 v17, s[0:1], s28, v42
	v_addc_co_u32_e64 v18, s[0:1], v44, v18, s[0:1]
	s_waitcnt lgkmcnt(0)
	s_barrier
	global_load_dword v23, v[17:18], off
	s_mov_b32 s0, 0x41a00000
	s_waitcnt vmcnt(0)
	v_cmp_ge_f32_e64 s[0:1], s0, v23
	s_and_saveexec_b64 s[2:3], s[0:1]
	s_cbranch_execz .LBB8_8
; %bb.7:
	v_mul_f32_e32 v19, 0x3fb8aa3b, v23
	s_mov_b32 s0, 0x3fb8aa3b
	v_rndne_f32_e32 v20, v19
	v_sub_f32_e32 v32, v19, v20
	v_fma_f32 v19, v23, s0, -v19
	v_fmac_f32_e32 v19, 0x32a5705f, v23
	v_add_f32_e32 v19, v32, v19
	v_exp_f32_e32 v19, v19
	v_cvt_i32_f32_e32 v20, v20
	s_mov_b32 s0, 0xc2ce8ed0
	v_cmp_ngt_f32_e64 s[0:1], s0, v23
	v_mov_b32_e32 v32, 0x7f800000
	v_ldexp_f32 v19, v19, v20
	v_cndmask_b32_e64 v19, 0, v19, s[0:1]
	s_mov_b32 s0, 0x42b17218
	v_cmp_nlt_f32_e64 s[0:1], s0, v23
	v_cndmask_b32_e64 v23, v32, v19, s[0:1]
	v_add_f32_e32 v42, 1.0, v23
	v_cvt_f64_f32_e32 v[19:20], v42
	v_add_f32_e32 v44, -1.0, v42
	v_sub_f32_e32 v45, v44, v42
	v_sub_f32_e32 v44, v23, v44
	v_frexp_exp_i32_f64_e32 v19, v[19:20]
	v_add_f32_e32 v20, 1.0, v45
	v_add_f32_e32 v20, v44, v20
	v_frexp_mant_f32_e32 v44, v42
	s_mov_b32 s0, 0x3f2aaaab
	v_cmp_gt_f32_e64 s[0:1], s0, v44
	s_mov_b32 s4, 0x7f800000
	v_subbrev_co_u32_e64 v19, s[0:1], 0, v19, s[0:1]
	v_sub_u32_e32 v44, 0, v19
	v_ldexp_f32 v42, v42, v44
	v_ldexp_f32 v20, v20, v44
	v_add_f32_e32 v44, -1.0, v42
	v_add_f32_e32 v54, 1.0, v42
	v_add_f32_e32 v45, 1.0, v44
	v_add_f32_e32 v55, -1.0, v54
	v_sub_f32_e32 v45, v42, v45
	v_sub_f32_e32 v42, v42, v55
	v_add_f32_e32 v45, v20, v45
	v_add_f32_e32 v20, v20, v42
	;; [unrolled: 1-line block ×3, first 2 shown]
	v_rcp_f32_e32 v55, v42
	v_add_f32_e32 v46, v44, v45
	v_sub_f32_e32 v44, v44, v46
	v_add_f32_e32 v44, v45, v44
	v_sub_f32_e32 v45, v54, v42
	v_add_f32_e32 v20, v20, v45
	v_mul_f32_e32 v45, v46, v55
	v_mul_f32_e32 v54, v42, v45
	v_fma_f32 v56, v45, v42, -v54
	v_fmac_f32_e32 v56, v45, v20
	v_add_f32_e32 v57, v54, v56
	v_sub_f32_e32 v58, v46, v57
	v_sub_f32_e32 v46, v46, v58
	;; [unrolled: 1-line block ×4, first 2 shown]
	v_add_f32_e32 v44, v44, v46
	v_sub_f32_e32 v46, v54, v56
	v_add_f32_e32 v44, v46, v44
	v_add_f32_e32 v46, v58, v44
	v_mul_f32_e32 v54, v55, v46
	v_mul_f32_e32 v56, v42, v54
	v_fma_f32 v42, v54, v42, -v56
	v_fmac_f32_e32 v42, v54, v20
	v_sub_f32_e32 v20, v58, v46
	v_add_f32_e32 v20, v44, v20
	v_add_f32_e32 v44, v56, v42
	v_sub_f32_e32 v57, v46, v44
	v_sub_f32_e32 v46, v46, v57
	;; [unrolled: 1-line block ×4, first 2 shown]
	v_add_f32_e32 v20, v20, v44
	v_sub_f32_e32 v42, v56, v42
	v_add_f32_e32 v20, v42, v20
	v_add_f32_e32 v42, v45, v54
	;; [unrolled: 1-line block ×3, first 2 shown]
	v_sub_f32_e32 v44, v42, v45
	v_mul_f32_e32 v20, v55, v20
	v_sub_f32_e32 v44, v54, v44
	v_add_f32_e32 v20, v44, v20
	v_cvt_f32_i32_e32 v19, v19
	v_add_f32_e32 v44, v42, v20
	v_mul_f32_e32 v45, v44, v44
	v_mov_b32_e32 v46, 0x3ecc95a3
	v_fmac_f32_e32 v46, 0x3e9b6dac, v45
	v_mov_b32_e32 v54, 0x3f2aaada
	v_fmac_f32_e32 v54, v45, v46
	s_mov_b32 s0, 0x3f317218
	v_mul_f32_e32 v46, 0x3f317218, v19
	v_fma_f32 v55, v19, s0, -v46
	v_fmac_f32_e32 v55, 0xb102e308, v19
	v_sub_f32_e32 v19, v44, v42
	v_sub_f32_e32 v19, v20, v19
	v_add_f32_e32 v20, v46, v55
	v_sub_f32_e32 v42, v20, v46
	v_ldexp_f32 v46, v44, 1
	v_mul_f32_e32 v44, v44, v45
	v_mul_f32_e32 v44, v44, v54
	v_add_f32_e32 v45, v46, v44
	v_sub_f32_e32 v46, v45, v46
	v_ldexp_f32 v19, v19, 1
	v_sub_f32_e32 v44, v44, v46
	v_add_f32_e32 v19, v19, v44
	v_add_f32_e32 v44, v45, v19
	v_sub_f32_e32 v45, v44, v45
	v_sub_f32_e32 v19, v19, v45
	v_add_f32_e32 v45, v20, v44
	v_sub_f32_e32 v46, v45, v20
	v_sub_f32_e32 v54, v45, v46
	;; [unrolled: 1-line block ×5, first 2 shown]
	v_add_f32_e32 v20, v44, v20
	v_add_f32_e32 v44, v42, v19
	v_sub_f32_e32 v46, v44, v42
	v_sub_f32_e32 v54, v44, v46
	;; [unrolled: 1-line block ×4, first 2 shown]
	v_add_f32_e32 v20, v44, v20
	v_add_f32_e32 v19, v19, v42
	;; [unrolled: 1-line block ×3, first 2 shown]
	v_sub_f32_e32 v44, v42, v45
	v_sub_f32_e32 v20, v20, v44
	v_add_f32_e32 v19, v19, v20
	v_add_f32_e32 v19, v42, v19
	v_cmp_neq_f32_e64 s[0:1], s4, v23
	v_cndmask_b32_e64 v19, v32, v19, s[0:1]
	s_mov_b32 s0, 0x33800000
	v_cmp_gt_f32_e64 s[0:1], s0, v23
	v_cndmask_b32_e64 v23, v19, v23, s[0:1]
.LBB8_8:
	s_or_b64 exec, exec, s[2:3]
	s_ashr_i32 s26, s26, 2
	s_ashr_i32 s27, s26, 31
	s_lshl_b64 s[30:31], s[26:27], 2
	v_add_co_u32_e64 v19, s[0:1], s30, v39
	v_mov_b32_e32 v20, s31
	v_addc_co_u32_e64 v20, s[0:1], v40, v20, s[0:1]
	global_load_dword v32, v[19:20], off
	v_mov_b32_e32 v54, 0
	ds_read_b128 v[56:59], v54
	v_mul_f32_e32 v60, v23, v13
	s_mov_b32 s7, 0x3fb8aa3b
	v_mul_f32_e32 v61, v23, v14
	v_mul_f32_e32 v62, v23, v15
	;; [unrolled: 1-line block ×3, first 2 shown]
	s_mov_b32 s24, 0xc2ce8ed0
	s_mov_b32 s27, 0x42b17218
	v_mul_f32_e32 v63, v23, v16
	v_cmp_ngt_f32_e64 s[10:11], s24, v60
	v_cmp_nlt_f32_e64 s[4:5], s27, v60
	v_cmp_ngt_f32_e64 s[16:17], s24, v61
	v_cmp_nlt_f32_e64 s[14:15], s27, v61
	;; [unrolled: 2-line block ×4, first 2 shown]
	s_waitcnt vmcnt(0)
	v_mul_f32_e32 v55, v23, v32
	s_waitcnt lgkmcnt(0)
	v_mul_f32_e32 v46, v55, v56
	v_mul_f32_e32 v45, v55, v57
	v_mul_f32_e32 v32, 0x3fb8aa3b, v61
	v_mul_f32_e32 v56, 0x3fb8aa3b, v62
	v_fma_f32 v57, v60, s7, -v64
	v_mul_f32_e32 v44, v55, v58
	v_mul_f32_e32 v42, v55, v59
	v_fmac_f32_e32 v57, 0x32a5705f, v60
	v_fma_f32 v58, v61, s7, -v32
	v_fma_f32 v59, v62, s7, -v56
	v_mul_f32_e32 v60, 0x3fb8aa3b, v63
	v_fmac_f32_e32 v58, 0x32a5705f, v61
	v_fmac_f32_e32 v59, 0x32a5705f, v62
	v_fma_f32 v61, v63, s7, -v60
	v_rndne_f32_e32 v62, v64
	v_fmac_f32_e32 v61, 0x32a5705f, v63
	v_sub_f32_e32 v63, v64, v62
	v_add_f32_e32 v57, v63, v57
	v_rndne_f32_e32 v63, v32
	v_sub_f32_e32 v32, v32, v63
	v_cvt_i32_f32_e32 v62, v62
	v_exp_f32_e32 v57, v57
	v_add_f32_e32 v32, v32, v58
	v_rndne_f32_e32 v58, v56
	v_sub_f32_e32 v56, v56, v58
	v_add_f32_e32 v56, v56, v59
	v_ldexp_f32 v57, v57, v62
	v_cvt_i32_f32_e32 v62, v63
	v_exp_f32_e32 v32, v32
	v_cvt_i32_f32_e32 v58, v58
	v_exp_f32_e32 v56, v56
	v_rndne_f32_e32 v59, v60
	v_sub_f32_e32 v60, v60, v59
	v_add_f32_e32 v60, v60, v61
	v_ldexp_f32 v32, v32, v62
	v_ldexp_f32 v62, v56, v58
	v_cvt_i32_f32_e32 v56, v59
	v_exp_f32_e32 v58, v60
	v_cndmask_b32_e64 v57, 0, v57, s[10:11]
	v_mul_f32_e32 v61, v23, v9
	v_cndmask_b32_e64 v32, 0, v32, s[16:17]
	v_ldexp_f32 v63, v58, v56
	v_mov_b32_e32 v56, 0x7f800000
	v_cndmask_b32_e64 v57, v56, v57, s[4:5]
	v_fmac_f32_e32 v46, v49, v57
	ds_read_b128 v[57:60], v54 offset:64
	v_mul_f32_e32 v64, 0x3fb8aa3b, v61
	v_cndmask_b32_e64 v32, v56, v32, s[14:15]
	v_fma_f32 v65, v61, s7, -v64
	v_rndne_f32_e32 v66, v64
	v_fmac_f32_e32 v45, v50, v32
	v_cndmask_b32_e64 v49, 0, v62, s[2:3]
	v_cndmask_b32_e64 v50, 0, v63, s[12:13]
	v_fmac_f32_e32 v65, 0x32a5705f, v61
	v_sub_f32_e32 v64, v64, v66
	v_cndmask_b32_e64 v49, v56, v49, s[0:1]
	v_cndmask_b32_e64 v50, v56, v50, s[8:9]
	v_add_f32_e32 v64, v64, v65
	v_fmac_f32_e32 v44, v48, v49
	v_fmac_f32_e32 v42, v47, v50
	ds_read_b128 v[47:50], v54 offset:16
	s_waitcnt lgkmcnt(1)
	v_fma_f32 v57, v57, v46, 0
	v_exp_f32_e32 v32, v64
	v_fmac_f32_e32 v57, v58, v45
	v_cvt_i32_f32_e32 v58, v66
	v_fmac_f32_e32 v57, v59, v44
	v_cmp_ngt_f32_e64 s[0:1], s24, v61
	v_fmac_f32_e32 v57, v60, v42
	v_ldexp_f32 v32, v32, v58
	v_mul_f32_e32 v58, v23, v10
	v_mul_f32_e32 v59, 0x3fb8aa3b, v58
	v_cndmask_b32_e64 v32, 0, v32, s[0:1]
	v_cmp_nlt_f32_e64 s[0:1], s27, v61
	v_fma_f32 v60, v58, s7, -v59
	v_rndne_f32_e32 v61, v59
	v_fmac_f32_e32 v60, 0x32a5705f, v58
	v_sub_f32_e32 v59, v59, v61
	v_add_f32_e32 v59, v59, v60
	v_exp_f32_e32 v59, v59
	v_cvt_i32_f32_e32 v60, v61
	v_cndmask_b32_e64 v32, v56, v32, s[0:1]
	s_waitcnt lgkmcnt(0)
	v_mul_f32_e32 v47, v55, v47
	v_fmac_f32_e32 v47, v31, v32
	v_ldexp_f32 v31, v59, v60
	v_cmp_ngt_f32_e64 s[0:1], s24, v58
	v_cndmask_b32_e64 v31, 0, v31, s[0:1]
	v_cmp_nlt_f32_e64 s[0:1], s27, v58
	v_mul_f32_e32 v58, v23, v11
	v_mul_f32_e32 v32, 0x3fb8aa3b, v58
	v_fma_f32 v59, v58, s7, -v32
	v_rndne_f32_e32 v60, v32
	v_fmac_f32_e32 v59, 0x32a5705f, v58
	v_sub_f32_e32 v32, v32, v60
	v_add_f32_e32 v32, v32, v59
	v_exp_f32_e32 v59, v32
	v_cvt_i32_f32_e32 v60, v60
	v_cndmask_b32_e64 v31, v56, v31, s[0:1]
	v_mul_f32_e32 v32, v55, v48
	v_mul_f32_e32 v48, v23, v12
	v_fmac_f32_e32 v32, v51, v31
	v_ldexp_f32 v31, v59, v60
	v_cmp_ngt_f32_e64 s[0:1], s24, v58
	v_mul_f32_e32 v51, 0x3fb8aa3b, v48
	v_cndmask_b32_e64 v31, 0, v31, s[0:1]
	v_cmp_nlt_f32_e64 s[0:1], s27, v58
	v_fma_f32 v58, v48, s7, -v51
	v_rndne_f32_e32 v59, v51
	v_fmac_f32_e32 v58, 0x32a5705f, v48
	v_sub_f32_e32 v51, v51, v59
	v_add_f32_e32 v51, v51, v58
	v_exp_f32_e32 v51, v51
	v_cvt_i32_f32_e32 v58, v59
	v_cndmask_b32_e64 v59, v56, v31, s[0:1]
	v_mul_f32_e32 v31, v55, v49
	v_fmac_f32_e32 v31, v52, v59
	v_ldexp_f32 v49, v51, v58
	ds_read_b128 v[58:61], v54 offset:80
	v_cmp_ngt_f32_e64 s[0:1], s24, v48
	v_cndmask_b32_e64 v49, 0, v49, s[0:1]
	v_cmp_nlt_f32_e64 s[0:1], s27, v48
	v_mul_f32_e32 v48, v55, v50
	v_mul_f32_e32 v50, v23, v5
	;; [unrolled: 1-line block ×3, first 2 shown]
	s_waitcnt lgkmcnt(0)
	v_fmac_f32_e32 v57, v58, v47
	v_fma_f32 v52, v50, s7, -v51
	v_rndne_f32_e32 v58, v51
	v_fmac_f32_e32 v52, 0x32a5705f, v50
	v_sub_f32_e32 v51, v51, v58
	v_add_f32_e32 v51, v51, v52
	v_exp_f32_e32 v51, v51
	v_cvt_i32_f32_e32 v52, v58
	v_cndmask_b32_e64 v49, v56, v49, s[0:1]
	v_fmac_f32_e32 v48, v25, v49
	v_cmp_ngt_f32_e64 s[0:1], s24, v50
	v_ldexp_f32 v25, v51, v52
	v_mul_f32_e32 v49, v23, v6
	v_fmac_f32_e32 v57, v59, v32
	v_cndmask_b32_e64 v25, 0, v25, s[0:1]
	v_cmp_nlt_f32_e64 s[0:1], s27, v50
	v_mul_f32_e32 v50, 0x3fb8aa3b, v49
	v_fmac_f32_e32 v57, v60, v31
	v_fma_f32 v51, v49, s7, -v50
	v_rndne_f32_e32 v52, v50
	v_fmac_f32_e32 v57, v61, v48
	ds_read_b128 v[58:61], v54 offset:32
	ds_read_b128 v[62:65], v54 offset:96
	v_fmac_f32_e32 v51, 0x32a5705f, v49
	v_sub_f32_e32 v50, v50, v52
	v_add_f32_e32 v50, v50, v51
	v_exp_f32_e32 v50, v50
	v_cvt_i32_f32_e32 v51, v52
	v_cndmask_b32_e64 v25, v56, v25, s[0:1]
	s_waitcnt lgkmcnt(1)
	v_mul_f32_e32 v52, v55, v58
	v_fmac_f32_e32 v52, v28, v25
	v_ldexp_f32 v25, v50, v51
	v_cmp_ngt_f32_e64 s[0:1], s24, v49
	v_mul_f32_e32 v28, v23, v7
	v_cndmask_b32_e64 v25, 0, v25, s[0:1]
	v_cmp_nlt_f32_e64 s[0:1], s27, v49
	v_mul_f32_e32 v49, 0x3fb8aa3b, v28
	v_fma_f32 v50, v28, s7, -v49
	v_rndne_f32_e32 v51, v49
	v_fmac_f32_e32 v50, 0x32a5705f, v28
	v_sub_f32_e32 v49, v49, v51
	v_add_f32_e32 v49, v49, v50
	v_exp_f32_e32 v49, v49
	v_cvt_i32_f32_e32 v50, v51
	v_cndmask_b32_e64 v25, v56, v25, s[0:1]
	v_mul_f32_e32 v51, v55, v59
	v_fmac_f32_e32 v51, v43, v25
	v_ldexp_f32 v25, v49, v50
	v_cmp_ngt_f32_e64 s[0:1], s24, v28
	v_cndmask_b32_e64 v25, 0, v25, s[0:1]
	v_cmp_nlt_f32_e64 s[0:1], s27, v28
	v_mul_f32_e32 v28, v23, v8
	v_mul_f32_e32 v43, 0x3fb8aa3b, v28
	v_fma_f32 v49, v28, s7, -v43
	v_rndne_f32_e32 v50, v43
	v_fmac_f32_e32 v49, 0x32a5705f, v28
	v_sub_f32_e32 v43, v43, v50
	v_add_f32_e32 v43, v43, v49
	v_exp_f32_e32 v43, v43
	v_cvt_i32_f32_e32 v49, v50
	v_cndmask_b32_e64 v25, v56, v25, s[0:1]
	v_mul_f32_e32 v50, v55, v60
	v_fmac_f32_e32 v50, v27, v25
	v_ldexp_f32 v25, v43, v49
	v_mul_f32_e32 v43, v23, v1
	v_cmp_ngt_f32_e64 s[0:1], s24, v28
	v_mul_f32_e32 v27, 0x3fb8aa3b, v43
	v_cndmask_b32_e64 v25, 0, v25, s[0:1]
	v_cmp_nlt_f32_e64 s[0:1], s27, v28
	v_fma_f32 v28, v43, s7, -v27
	v_rndne_f32_e32 v58, v27
	v_fmac_f32_e32 v28, 0x32a5705f, v43
	v_sub_f32_e32 v27, v27, v58
	v_add_f32_e32 v27, v27, v28
	v_exp_f32_e32 v59, v27
	v_cvt_i32_f32_e32 v58, v58
	v_cndmask_b32_e64 v25, v56, v25, s[0:1]
	v_cmp_ngt_f32_e64 s[0:1], s24, v43
	v_mul_f32_e32 v49, v55, v61
	v_ldexp_f32 v58, v59, v58
	v_cndmask_b32_e64 v58, 0, v58, s[0:1]
	v_cmp_nlt_f32_e64 s[0:1], s27, v43
	v_mul_f32_e32 v43, v23, v2
	v_mul_f32_e32 v59, 0x3fb8aa3b, v43
	v_fma_f32 v60, v43, s7, -v59
	v_rndne_f32_e32 v61, v59
	v_fmac_f32_e32 v49, v26, v25
	ds_read_b128 v[25:28], v54 offset:48
	v_fmac_f32_e32 v60, 0x32a5705f, v43
	v_sub_f32_e32 v59, v59, v61
	v_add_f32_e32 v59, v59, v60
	v_exp_f32_e32 v59, v59
	v_cvt_i32_f32_e32 v60, v61
	s_waitcnt lgkmcnt(1)
	v_fmac_f32_e32 v57, v62, v52
	v_fmac_f32_e32 v57, v63, v51
	v_cndmask_b32_e64 v58, v56, v58, s[0:1]
	s_waitcnt lgkmcnt(0)
	v_mul_f32_e32 v63, v55, v25
	v_fmac_f32_e32 v63, v24, v58
	v_ldexp_f32 v24, v59, v60
	v_cmp_ngt_f32_e64 s[0:1], s24, v43
	v_mul_f32_e32 v25, v23, v3
	v_cndmask_b32_e64 v24, 0, v24, s[0:1]
	v_cmp_nlt_f32_e64 s[0:1], s27, v43
	v_mul_f32_e32 v43, 0x3fb8aa3b, v25
	v_fma_f32 v58, v25, s7, -v43
	v_rndne_f32_e32 v59, v43
	v_fmac_f32_e32 v58, 0x32a5705f, v25
	v_sub_f32_e32 v43, v43, v59
	v_add_f32_e32 v43, v43, v58
	v_fmac_f32_e32 v57, v64, v50
	v_exp_f32_e32 v62, v43
	v_cvt_i32_f32_e32 v64, v59
	v_cndmask_b32_e64 v24, v56, v24, s[0:1]
	v_mul_f32_e32 v43, v55, v26
	v_fmac_f32_e32 v43, v53, v24
	v_ldexp_f32 v24, v62, v64
	v_cmp_ngt_f32_e64 s[0:1], s24, v25
	v_cndmask_b32_e64 v24, 0, v24, s[0:1]
	v_cmp_nlt_f32_e64 s[0:1], s27, v25
	ds_read_b128 v[58:61], v54 offset:112
	v_cndmask_b32_e64 v24, v56, v24, s[0:1]
	v_mul_f32_e32 v54, v55, v27
	v_fmac_f32_e32 v54, v22, v24
	v_mul_f32_e32 v22, v23, v4
	v_mul_f32_e32 v23, 0x3fb8aa3b, v22
	v_fma_f32 v24, v22, s7, -v23
	v_rndne_f32_e32 v25, v23
	v_fmac_f32_e32 v24, 0x32a5705f, v22
	v_sub_f32_e32 v23, v23, v25
	v_add_f32_e32 v23, v23, v24
	v_exp_f32_e32 v23, v23
	v_cvt_i32_f32_e32 v24, v25
	v_fmac_f32_e32 v57, v65, v49
	v_cmp_ngt_f32_e64 s[0:1], s24, v22
	s_mov_b32 s4, 0
	v_ldexp_f32 v23, v23, v24
	s_mov_b32 s5, s38
	s_waitcnt lgkmcnt(0)
	v_fmac_f32_e32 v57, v58, v63
	v_cndmask_b32_e64 v23, 0, v23, s[0:1]
	v_cmp_nlt_f32_e64 s[0:1], s27, v22
	v_fmac_f32_e32 v57, v59, v43
	v_cndmask_b32_e64 v22, v56, v23, s[0:1]
	v_mul_f32_e32 v53, v55, v28
	s_ashr_i64 s[2:3], s[4:5], 30
	v_fmac_f32_e32 v57, v60, v54
	v_fmac_f32_e32 v53, v21, v22
	v_add_co_u32_e64 v21, s[0:1], s2, v29
	v_mov_b32_e32 v22, s3
	v_fmac_f32_e32 v57, v61, v53
	v_addc_co_u32_e64 v22, s[0:1], v30, v22, s[0:1]
	global_store_dword v[21:22], v57, off
	s_waitcnt vmcnt(0)
	s_barrier
	s_and_saveexec_b64 s[2:3], vcc
	s_cbranch_execz .LBB8_10
; %bb.9:
	s_lshl_b64 s[0:1], s[18:19], 3
	v_mov_b32_e32 v22, s1
	v_add_co_u32_e64 v21, s[0:1], s0, v35
	v_addc_co_u32_e64 v22, s[0:1], v36, v22, s[0:1]
	s_lshl_b64 s[0:1], s[20:21], 3
	global_load_dword v23, v[21:22], off
	v_mov_b32_e32 v22, s1
	v_add_co_u32_e64 v21, s[0:1], s0, v37
	v_addc_co_u32_e64 v22, s[0:1], v38, v22, s[0:1]
	global_load_dword v21, v[21:22], off
	s_waitcnt vmcnt(1)
	ds_write_b32 v0, v23
	s_waitcnt vmcnt(0)
	ds_write_b32 v41, v21
.LBB8_10:
	s_or_b64 exec, exec, s[2:3]
	v_mov_b32_e32 v21, s29
	v_add_co_u32_e64 v27, s[0:1], s28, v17
	v_addc_co_u32_e64 v28, s[0:1], v18, v21, s[0:1]
	s_waitcnt lgkmcnt(0)
	s_barrier
	global_load_dword v65, v[27:28], off
	s_mov_b32 s0, 0x41a00000
	s_waitcnt vmcnt(0)
	v_cmp_ge_f32_e64 s[0:1], s0, v65
	s_and_saveexec_b64 s[2:3], s[0:1]
	s_cbranch_execz .LBB8_12
; %bb.11:
	v_mul_f32_e32 v17, 0x3fb8aa3b, v65
	s_mov_b32 s0, 0x3fb8aa3b
	v_rndne_f32_e32 v18, v17
	v_sub_f32_e32 v21, v17, v18
	v_fma_f32 v17, v65, s0, -v17
	v_fmac_f32_e32 v17, 0x32a5705f, v65
	v_add_f32_e32 v17, v21, v17
	v_exp_f32_e32 v17, v17
	v_cvt_i32_f32_e32 v18, v18
	s_mov_b32 s0, 0xc2ce8ed0
	v_cmp_ngt_f32_e64 s[0:1], s0, v65
	v_mov_b32_e32 v21, 0x7f800000
	v_ldexp_f32 v17, v17, v18
	v_cndmask_b32_e64 v17, 0, v17, s[0:1]
	s_mov_b32 s0, 0x42b17218
	v_cmp_nlt_f32_e64 s[0:1], s0, v65
	v_cndmask_b32_e64 v22, v21, v17, s[0:1]
	v_add_f32_e32 v23, 1.0, v22
	v_cvt_f64_f32_e32 v[17:18], v23
	v_add_f32_e32 v24, -1.0, v23
	v_sub_f32_e32 v25, v24, v23
	v_sub_f32_e32 v24, v22, v24
	v_frexp_exp_i32_f64_e32 v17, v[17:18]
	v_add_f32_e32 v18, 1.0, v25
	v_add_f32_e32 v18, v24, v18
	v_frexp_mant_f32_e32 v24, v23
	s_mov_b32 s0, 0x3f2aaaab
	v_cmp_gt_f32_e64 s[0:1], s0, v24
	s_mov_b32 s7, 0x7f800000
	v_subbrev_co_u32_e64 v17, s[0:1], 0, v17, s[0:1]
	v_sub_u32_e32 v24, 0, v17
	v_ldexp_f32 v23, v23, v24
	v_ldexp_f32 v18, v18, v24
	v_add_f32_e32 v24, -1.0, v23
	v_add_f32_e32 v55, 1.0, v23
	v_add_f32_e32 v25, 1.0, v24
	v_add_f32_e32 v56, -1.0, v55
	v_sub_f32_e32 v25, v23, v25
	v_sub_f32_e32 v23, v23, v56
	v_add_f32_e32 v25, v18, v25
	v_add_f32_e32 v18, v18, v23
	;; [unrolled: 1-line block ×3, first 2 shown]
	v_rcp_f32_e32 v56, v23
	v_add_f32_e32 v26, v24, v25
	v_sub_f32_e32 v24, v24, v26
	v_add_f32_e32 v24, v25, v24
	v_sub_f32_e32 v25, v55, v23
	v_add_f32_e32 v18, v18, v25
	v_mul_f32_e32 v25, v26, v56
	v_mul_f32_e32 v55, v23, v25
	v_fma_f32 v57, v25, v23, -v55
	v_fmac_f32_e32 v57, v25, v18
	v_add_f32_e32 v58, v55, v57
	v_sub_f32_e32 v59, v26, v58
	v_sub_f32_e32 v26, v26, v59
	;; [unrolled: 1-line block ×4, first 2 shown]
	v_add_f32_e32 v24, v24, v26
	v_sub_f32_e32 v26, v55, v57
	v_add_f32_e32 v24, v26, v24
	v_add_f32_e32 v26, v59, v24
	v_mul_f32_e32 v55, v56, v26
	v_mul_f32_e32 v57, v23, v55
	v_fma_f32 v23, v55, v23, -v57
	v_fmac_f32_e32 v23, v55, v18
	v_sub_f32_e32 v18, v59, v26
	v_add_f32_e32 v18, v24, v18
	v_add_f32_e32 v24, v57, v23
	v_sub_f32_e32 v58, v26, v24
	v_sub_f32_e32 v26, v26, v58
	;; [unrolled: 1-line block ×4, first 2 shown]
	v_add_f32_e32 v18, v18, v24
	v_sub_f32_e32 v23, v57, v23
	v_add_f32_e32 v18, v23, v18
	v_add_f32_e32 v23, v25, v55
	v_add_f32_e32 v18, v58, v18
	v_sub_f32_e32 v24, v23, v25
	v_mul_f32_e32 v18, v56, v18
	v_sub_f32_e32 v24, v55, v24
	v_add_f32_e32 v18, v24, v18
	v_cvt_f32_i32_e32 v17, v17
	v_add_f32_e32 v24, v23, v18
	v_mul_f32_e32 v25, v24, v24
	v_mov_b32_e32 v26, 0x3ecc95a3
	v_fmac_f32_e32 v26, 0x3e9b6dac, v25
	v_mov_b32_e32 v55, 0x3f2aaada
	v_fmac_f32_e32 v55, v25, v26
	s_mov_b32 s0, 0x3f317218
	v_mul_f32_e32 v26, 0x3f317218, v17
	v_fma_f32 v56, v17, s0, -v26
	v_fmac_f32_e32 v56, 0xb102e308, v17
	v_sub_f32_e32 v17, v24, v23
	v_sub_f32_e32 v17, v18, v17
	v_add_f32_e32 v18, v26, v56
	v_sub_f32_e32 v23, v18, v26
	v_ldexp_f32 v26, v24, 1
	v_mul_f32_e32 v24, v24, v25
	v_mul_f32_e32 v24, v24, v55
	v_add_f32_e32 v25, v26, v24
	v_sub_f32_e32 v26, v25, v26
	v_ldexp_f32 v17, v17, 1
	v_sub_f32_e32 v24, v24, v26
	v_add_f32_e32 v17, v17, v24
	v_add_f32_e32 v24, v25, v17
	v_sub_f32_e32 v25, v24, v25
	v_sub_f32_e32 v17, v17, v25
	v_add_f32_e32 v25, v18, v24
	v_sub_f32_e32 v26, v25, v18
	v_sub_f32_e32 v55, v25, v26
	;; [unrolled: 1-line block ×5, first 2 shown]
	v_add_f32_e32 v18, v24, v18
	v_add_f32_e32 v24, v23, v17
	v_sub_f32_e32 v26, v24, v23
	v_sub_f32_e32 v55, v24, v26
	;; [unrolled: 1-line block ×4, first 2 shown]
	v_add_f32_e32 v18, v24, v18
	v_add_f32_e32 v17, v17, v23
	;; [unrolled: 1-line block ×3, first 2 shown]
	v_sub_f32_e32 v24, v23, v25
	v_sub_f32_e32 v18, v18, v24
	v_add_f32_e32 v17, v17, v18
	v_add_f32_e32 v17, v23, v17
	v_cmp_neq_f32_e64 s[0:1], s7, v22
	v_cndmask_b32_e64 v17, v21, v17, s[0:1]
	s_mov_b32 s0, 0x33800000
	v_cmp_gt_f32_e64 s[0:1], s0, v22
	v_cndmask_b32_e64 v65, v17, v22, s[0:1]
.LBB8_12:
	s_or_b64 exec, exec, s[2:3]
	v_add_co_u32_e64 v25, s[0:1], s30, v19
	v_mov_b32_e32 v17, s31
	v_addc_co_u32_e64 v26, s[0:1], v20, v17, s[0:1]
	global_load_dword v17, v[25:26], off
	s_mov_b32 s2, 0x3fb8aa3b
	s_mov_b32 s3, 0xc2ce8ed0
	s_mov_b32 s7, 0x42b17218
	v_mov_b32_e32 v68, 0x7f800000
	v_mov_b32_e32 v64, 0
	s_waitcnt vmcnt(0)
	v_mul_f32_e32 v66, v65, v17
	v_mul_f32_e32 v17, v65, v13
	v_mul_f32_e32 v18, 0x3fb8aa3b, v17
	v_fma_f32 v19, v17, s2, -v18
	v_rndne_f32_e32 v20, v18
	v_fmac_f32_e32 v19, 0x32a5705f, v17
	v_sub_f32_e32 v18, v18, v20
	v_add_f32_e32 v18, v18, v19
	v_exp_f32_e32 v18, v18
	v_cvt_i32_f32_e32 v19, v20
	v_cmp_ngt_f32_e64 s[0:1], s3, v17
	v_ldexp_f32 v18, v18, v19
	v_cndmask_b32_e64 v18, 0, v18, s[0:1]
	v_cmp_nlt_f32_e64 s[0:1], s7, v17
	v_cndmask_b32_e64 v67, v68, v18, s[0:1]
	ds_read_b128 v[55:58], v64
	ds_read_b128 v[59:62], v64 offset:16
	ds_read_b128 v[21:24], v64 offset:32
	;; [unrolled: 1-line block ×4, first 2 shown]
	s_waitcnt lgkmcnt(4)
	v_mul_f32_e32 v55, v66, v55
	v_fmac_f32_e32 v55, v46, v67
	v_mul_f32_e32 v46, v65, v14
	v_cmp_ngt_f32_e64 s[0:1], s3, v46
	s_waitcnt lgkmcnt(0)
	v_fma_f32 v67, v69, v55, 0
	v_mul_f32_e32 v69, 0x3fb8aa3b, v46
	v_fma_f32 v73, v46, s2, -v69
	v_rndne_f32_e32 v74, v69
	v_fmac_f32_e32 v73, 0x32a5705f, v46
	v_sub_f32_e32 v69, v69, v74
	v_add_f32_e32 v69, v69, v73
	v_exp_f32_e32 v69, v69
	v_cvt_i32_f32_e32 v73, v74
	v_ldexp_f32 v69, v69, v73
	v_cndmask_b32_e64 v69, 0, v69, s[0:1]
	v_cmp_nlt_f32_e64 s[0:1], s7, v46
	v_cndmask_b32_e64 v69, v68, v69, s[0:1]
	v_mul_f32_e32 v46, v66, v56
	v_fmac_f32_e32 v46, v45, v69
	v_mul_f32_e32 v45, v65, v15
	v_mul_f32_e32 v56, 0x3fb8aa3b, v45
	v_fmac_f32_e32 v67, v70, v46
	v_fma_f32 v69, v45, s2, -v56
	v_rndne_f32_e32 v70, v56
	v_fmac_f32_e32 v69, 0x32a5705f, v45
	v_sub_f32_e32 v56, v56, v70
	v_add_f32_e32 v56, v56, v69
	v_exp_f32_e32 v56, v56
	v_cvt_i32_f32_e32 v69, v70
	v_cmp_ngt_f32_e64 s[0:1], s3, v45
	v_ldexp_f32 v56, v56, v69
	v_cndmask_b32_e64 v56, 0, v56, s[0:1]
	v_cmp_nlt_f32_e64 s[0:1], s7, v45
	v_cndmask_b32_e64 v56, v68, v56, s[0:1]
	v_mul_f32_e32 v45, v66, v57
	v_fmac_f32_e32 v45, v44, v56
	v_mul_f32_e32 v44, v65, v16
	v_mul_f32_e32 v56, 0x3fb8aa3b, v44
	v_fma_f32 v57, v44, s2, -v56
	v_rndne_f32_e32 v69, v56
	v_fmac_f32_e32 v57, 0x32a5705f, v44
	v_sub_f32_e32 v56, v56, v69
	v_add_f32_e32 v56, v56, v57
	v_exp_f32_e32 v56, v56
	v_cvt_i32_f32_e32 v57, v69
	v_cmp_ngt_f32_e64 s[0:1], s3, v44
	v_fmac_f32_e32 v67, v71, v45
	v_ldexp_f32 v56, v56, v57
	v_cndmask_b32_e64 v56, 0, v56, s[0:1]
	v_cmp_nlt_f32_e64 s[0:1], s7, v44
	v_cndmask_b32_e64 v44, v68, v56, s[0:1]
	v_mul_f32_e32 v56, v66, v58
	v_fmac_f32_e32 v56, v42, v44
	v_mul_f32_e32 v42, v65, v9
	v_mul_f32_e32 v44, 0x3fb8aa3b, v42
	v_fma_f32 v57, v42, s2, -v44
	v_rndne_f32_e32 v58, v44
	v_fmac_f32_e32 v57, 0x32a5705f, v42
	v_sub_f32_e32 v44, v44, v58
	v_add_f32_e32 v44, v44, v57
	v_exp_f32_e32 v44, v44
	v_cvt_i32_f32_e32 v57, v58
	v_cmp_ngt_f32_e64 s[0:1], s3, v42
	v_fmac_f32_e32 v67, v72, v56
	ds_read_b128 v[69:72], v64 offset:80
	v_ldexp_f32 v44, v44, v57
	v_cndmask_b32_e64 v44, 0, v44, s[0:1]
	v_cmp_nlt_f32_e64 s[0:1], s7, v42
	v_cndmask_b32_e64 v42, v68, v44, s[0:1]
	v_mul_f32_e32 v57, v66, v59
	v_fmac_f32_e32 v57, v47, v42
	v_mul_f32_e32 v42, v65, v10
	v_mul_f32_e32 v44, 0x3fb8aa3b, v42
	v_fma_f32 v47, v42, s2, -v44
	v_rndne_f32_e32 v58, v44
	v_fmac_f32_e32 v47, 0x32a5705f, v42
	v_sub_f32_e32 v44, v44, v58
	v_add_f32_e32 v44, v44, v47
	v_exp_f32_e32 v44, v44
	v_cvt_i32_f32_e32 v47, v58
	v_cmp_ngt_f32_e64 s[0:1], s3, v42
	v_mul_f32_e32 v59, v66, v21
	v_mul_f32_e32 v21, v65, v6
	v_ldexp_f32 v44, v44, v47
	v_cndmask_b32_e64 v44, 0, v44, s[0:1]
	v_cmp_nlt_f32_e64 s[0:1], s7, v42
	v_cndmask_b32_e64 v42, v68, v44, s[0:1]
	v_mul_f32_e32 v47, v66, v60
	v_fmac_f32_e32 v47, v32, v42
	v_mul_f32_e32 v32, v65, v11
	v_mul_f32_e32 v42, 0x3fb8aa3b, v32
	v_fma_f32 v44, v32, s2, -v42
	v_rndne_f32_e32 v58, v42
	v_fmac_f32_e32 v44, 0x32a5705f, v32
	v_sub_f32_e32 v42, v42, v58
	v_add_f32_e32 v42, v42, v44
	v_exp_f32_e32 v42, v42
	v_cvt_i32_f32_e32 v44, v58
	v_cmp_ngt_f32_e64 s[0:1], s3, v32
	v_mul_f32_e32 v58, v66, v61
	v_mul_f32_e32 v60, v66, v23
	v_ldexp_f32 v42, v42, v44
	v_cndmask_b32_e64 v42, 0, v42, s[0:1]
	v_cmp_nlt_f32_e64 s[0:1], s7, v32
	v_cndmask_b32_e64 v32, v68, v42, s[0:1]
	v_fmac_f32_e32 v58, v31, v32
	v_mul_f32_e32 v31, v65, v12
	v_mul_f32_e32 v32, 0x3fb8aa3b, v31
	v_fma_f32 v42, v31, s2, -v32
	v_rndne_f32_e32 v44, v32
	v_fmac_f32_e32 v42, 0x32a5705f, v31
	v_sub_f32_e32 v32, v32, v44
	v_add_f32_e32 v32, v32, v42
	v_exp_f32_e32 v32, v32
	v_cvt_i32_f32_e32 v42, v44
	v_cmp_ngt_f32_e64 s[0:1], s3, v31
	v_mul_f32_e32 v61, v66, v24
	v_ldexp_f32 v32, v32, v42
	v_cndmask_b32_e64 v32, 0, v32, s[0:1]
	v_cmp_nlt_f32_e64 s[0:1], s7, v31
	v_cndmask_b32_e64 v32, v68, v32, s[0:1]
	v_mul_f32_e32 v31, v66, v62
	v_fmac_f32_e32 v31, v48, v32
	v_mul_f32_e32 v32, v65, v5
	v_mul_f32_e32 v42, 0x3fb8aa3b, v32
	v_fma_f32 v44, v32, s2, -v42
	v_rndne_f32_e32 v48, v42
	v_fmac_f32_e32 v44, 0x32a5705f, v32
	v_sub_f32_e32 v42, v42, v48
	v_add_f32_e32 v42, v42, v44
	v_exp_f32_e32 v42, v42
	v_cvt_i32_f32_e32 v44, v48
	v_cmp_ngt_f32_e64 s[0:1], s3, v32
	v_mul_f32_e32 v62, v66, v17
	v_mul_f32_e32 v17, v65, v2
	v_ldexp_f32 v42, v42, v44
	v_cndmask_b32_e64 v42, 0, v42, s[0:1]
	v_cmp_nlt_f32_e64 s[0:1], s7, v32
	v_cndmask_b32_e64 v32, v68, v42, s[0:1]
	v_fmac_f32_e32 v59, v52, v32
	v_mul_f32_e32 v32, 0x3fb8aa3b, v21
	v_fma_f32 v42, v21, s2, -v32
	v_rndne_f32_e32 v44, v32
	v_fmac_f32_e32 v42, 0x32a5705f, v21
	v_sub_f32_e32 v32, v32, v44
	v_add_f32_e32 v32, v32, v42
	v_exp_f32_e32 v32, v32
	v_cvt_i32_f32_e32 v42, v44
	v_cmp_ngt_f32_e64 s[0:1], s3, v21
	v_mul_f32_e32 v52, v66, v22
	v_ldexp_f32 v32, v32, v42
	v_cndmask_b32_e64 v32, 0, v32, s[0:1]
	v_cmp_nlt_f32_e64 s[0:1], s7, v21
	v_cndmask_b32_e64 v21, v68, v32, s[0:1]
	v_fmac_f32_e32 v52, v51, v21
	v_mul_f32_e32 v21, v65, v7
	v_mul_f32_e32 v22, 0x3fb8aa3b, v21
	v_fma_f32 v32, v21, s2, -v22
	v_rndne_f32_e32 v42, v22
	v_fmac_f32_e32 v32, 0x32a5705f, v21
	v_sub_f32_e32 v22, v22, v42
	v_add_f32_e32 v22, v22, v32
	v_exp_f32_e32 v22, v22
	v_cvt_i32_f32_e32 v32, v42
	v_cmp_ngt_f32_e64 s[0:1], s3, v21
	v_ldexp_f32 v22, v22, v32
	v_cndmask_b32_e64 v22, 0, v22, s[0:1]
	v_cmp_nlt_f32_e64 s[0:1], s7, v21
	v_cndmask_b32_e64 v21, v68, v22, s[0:1]
	v_fmac_f32_e32 v60, v50, v21
	v_mul_f32_e32 v21, v65, v8
	v_mul_f32_e32 v22, 0x3fb8aa3b, v21
	v_fma_f32 v23, v21, s2, -v22
	v_rndne_f32_e32 v32, v22
	v_fmac_f32_e32 v23, 0x32a5705f, v21
	v_sub_f32_e32 v22, v22, v32
	v_add_f32_e32 v22, v22, v23
	v_exp_f32_e32 v22, v22
	v_cvt_i32_f32_e32 v23, v32
	v_cmp_ngt_f32_e64 s[0:1], s3, v21
	;; [unrolled: 15-line block ×3, first 2 shown]
	v_ldexp_f32 v22, v22, v23
	v_cndmask_b32_e64 v22, 0, v22, s[0:1]
	v_cmp_nlt_f32_e64 s[0:1], s7, v21
	v_cndmask_b32_e64 v21, v68, v22, s[0:1]
	v_fmac_f32_e32 v62, v63, v21
	ds_read_b128 v[21:24], v64 offset:112
	s_waitcnt lgkmcnt(1)
	v_fmac_f32_e32 v67, v69, v57
	v_fmac_f32_e32 v67, v70, v47
	v_fmac_f32_e32 v67, v71, v58
	v_fmac_f32_e32 v67, v72, v31
	ds_read_b128 v[69:72], v64 offset:96
	v_cmp_ngt_f32_e64 s[0:1], s3, v17
	v_mul_f32_e32 v63, v66, v18
	v_mul_f32_e32 v64, v66, v19
	s_waitcnt lgkmcnt(0)
	v_fmac_f32_e32 v67, v69, v59
	v_fmac_f32_e32 v67, v70, v52
	;; [unrolled: 1-line block ×5, first 2 shown]
	v_mul_f32_e32 v21, 0x3fb8aa3b, v17
	v_fma_f32 v32, v17, s2, -v21
	v_rndne_f32_e32 v42, v21
	v_fmac_f32_e32 v32, 0x32a5705f, v17
	v_sub_f32_e32 v21, v21, v42
	v_add_f32_e32 v21, v21, v32
	v_exp_f32_e32 v21, v21
	v_cvt_i32_f32_e32 v32, v42
	v_ldexp_f32 v21, v21, v32
	v_cndmask_b32_e64 v21, 0, v21, s[0:1]
	v_cmp_nlt_f32_e64 s[0:1], s7, v17
	v_cndmask_b32_e64 v17, v68, v21, s[0:1]
	v_fmac_f32_e32 v63, v43, v17
	v_mul_f32_e32 v17, v65, v3
	v_mul_f32_e32 v18, 0x3fb8aa3b, v17
	v_fmac_f32_e32 v67, v22, v63
	v_fma_f32 v21, v17, s2, -v18
	v_rndne_f32_e32 v22, v18
	v_fmac_f32_e32 v21, 0x32a5705f, v17
	v_sub_f32_e32 v18, v18, v22
	v_add_f32_e32 v18, v18, v21
	v_exp_f32_e32 v18, v18
	v_cvt_i32_f32_e32 v21, v22
	v_cmp_ngt_f32_e64 s[0:1], s3, v17
	v_ldexp_f32 v18, v18, v21
	v_cndmask_b32_e64 v18, 0, v18, s[0:1]
	v_cmp_nlt_f32_e64 s[0:1], s7, v17
	v_cndmask_b32_e64 v17, v68, v18, s[0:1]
	v_fmac_f32_e32 v64, v54, v17
	v_mul_f32_e32 v17, v65, v4
	v_mul_f32_e32 v18, 0x3fb8aa3b, v17
	v_fma_f32 v19, v17, s2, -v18
	v_rndne_f32_e32 v21, v18
	v_fmac_f32_e32 v19, 0x32a5705f, v17
	v_sub_f32_e32 v18, v18, v21
	v_add_f32_e32 v18, v18, v19
	v_exp_f32_e32 v18, v18
	v_cvt_i32_f32_e32 v19, v21
	v_cmp_ngt_f32_e64 s[0:1], s3, v17
	v_mul_f32_e32 v65, v66, v20
	s_ashr_i64 s[2:3], s[4:5], 29
	v_ldexp_f32 v18, v18, v19
	v_cndmask_b32_e64 v18, 0, v18, s[0:1]
	v_cmp_nlt_f32_e64 s[0:1], s7, v17
	v_cndmask_b32_e64 v17, v68, v18, s[0:1]
	v_fmac_f32_e32 v67, v23, v64
	v_fmac_f32_e32 v65, v53, v17
	v_add_co_u32_e64 v17, s[0:1], s2, v29
	v_mov_b32_e32 v18, s3
	v_fmac_f32_e32 v67, v24, v65
	v_addc_co_u32_e64 v18, s[0:1], v30, v18, s[0:1]
	global_store_dword v[17:18], v67, off
	s_waitcnt vmcnt(0)
	s_barrier
	s_and_saveexec_b64 s[0:1], vcc
	s_cbranch_execz .LBB8_14
; %bb.13:
	v_mad_i64_i32 v[17:18], s[2:3], s18, 12, v[35:36]
	v_mad_i64_i32 v[19:20], s[2:3], s20, 12, v[37:38]
	global_load_dword v21, v[17:18], off
	global_load_dword v22, v[19:20], off
	s_waitcnt vmcnt(1)
	ds_write_b32 v0, v21
	s_waitcnt vmcnt(0)
	ds_write_b32 v41, v22
.LBB8_14:
	s_or_b64 exec, exec, s[0:1]
	v_mov_b32_e32 v17, s29
	v_add_co_u32_e64 v27, s[0:1], s28, v27
	v_addc_co_u32_e64 v28, s[0:1], v28, v17, s[0:1]
	s_waitcnt lgkmcnt(0)
	s_barrier
	global_load_dword v66, v[27:28], off
	s_mov_b32 s0, 0x41a00000
	s_bfe_i64 s[2:3], s[38:39], 0x200000
	s_waitcnt vmcnt(0)
	v_cmp_ge_f32_e64 s[0:1], s0, v66
	s_and_saveexec_b64 s[8:9], s[0:1]
	s_cbranch_execz .LBB8_16
; %bb.15:
	v_mul_f32_e32 v17, 0x3fb8aa3b, v66
	s_mov_b32 s0, 0x3fb8aa3b
	v_rndne_f32_e32 v18, v17
	v_sub_f32_e32 v19, v17, v18
	v_fma_f32 v17, v66, s0, -v17
	v_fmac_f32_e32 v17, 0x32a5705f, v66
	v_add_f32_e32 v17, v19, v17
	v_exp_f32_e32 v17, v17
	v_cvt_i32_f32_e32 v18, v18
	s_mov_b32 s0, 0xc2ce8ed0
	v_cmp_ngt_f32_e64 s[0:1], s0, v66
	v_mov_b32_e32 v19, 0x7f800000
	v_ldexp_f32 v17, v17, v18
	v_cndmask_b32_e64 v17, 0, v17, s[0:1]
	s_mov_b32 s0, 0x42b17218
	v_cmp_nlt_f32_e64 s[0:1], s0, v66
	v_cndmask_b32_e64 v20, v19, v17, s[0:1]
	v_add_f32_e32 v21, 1.0, v20
	v_cvt_f64_f32_e32 v[17:18], v21
	v_add_f32_e32 v22, -1.0, v21
	v_sub_f32_e32 v23, v22, v21
	v_sub_f32_e32 v22, v20, v22
	v_frexp_exp_i32_f64_e32 v17, v[17:18]
	v_add_f32_e32 v18, 1.0, v23
	v_add_f32_e32 v18, v22, v18
	v_frexp_mant_f32_e32 v22, v21
	s_mov_b32 s0, 0x3f2aaaab
	v_cmp_gt_f32_e64 s[0:1], s0, v22
	s_mov_b32 s3, 0x7f800000
	v_subbrev_co_u32_e64 v17, s[0:1], 0, v17, s[0:1]
	v_sub_u32_e32 v22, 0, v17
	v_ldexp_f32 v21, v21, v22
	v_ldexp_f32 v18, v18, v22
	v_add_f32_e32 v22, -1.0, v21
	v_add_f32_e32 v32, 1.0, v21
	v_add_f32_e32 v23, 1.0, v22
	v_add_f32_e32 v42, -1.0, v32
	v_sub_f32_e32 v23, v21, v23
	v_sub_f32_e32 v21, v21, v42
	v_add_f32_e32 v23, v18, v23
	v_add_f32_e32 v18, v18, v21
	;; [unrolled: 1-line block ×3, first 2 shown]
	v_rcp_f32_e32 v42, v21
	v_add_f32_e32 v24, v22, v23
	v_sub_f32_e32 v22, v22, v24
	v_add_f32_e32 v22, v23, v22
	v_sub_f32_e32 v23, v32, v21
	v_add_f32_e32 v18, v18, v23
	v_mul_f32_e32 v23, v24, v42
	v_mul_f32_e32 v32, v21, v23
	v_fma_f32 v43, v23, v21, -v32
	v_fmac_f32_e32 v43, v23, v18
	v_add_f32_e32 v44, v32, v43
	v_sub_f32_e32 v48, v24, v44
	v_sub_f32_e32 v24, v24, v48
	;; [unrolled: 1-line block ×4, first 2 shown]
	v_add_f32_e32 v22, v22, v24
	v_sub_f32_e32 v24, v32, v43
	v_add_f32_e32 v22, v24, v22
	v_add_f32_e32 v24, v48, v22
	v_mul_f32_e32 v32, v42, v24
	v_mul_f32_e32 v43, v21, v32
	v_fma_f32 v21, v32, v21, -v43
	v_fmac_f32_e32 v21, v32, v18
	v_sub_f32_e32 v18, v48, v24
	v_add_f32_e32 v18, v22, v18
	v_add_f32_e32 v22, v43, v21
	v_sub_f32_e32 v44, v24, v22
	v_sub_f32_e32 v24, v24, v44
	v_sub_f32_e32 v43, v22, v43
	v_sub_f32_e32 v22, v24, v22
	v_add_f32_e32 v18, v18, v22
	v_sub_f32_e32 v21, v43, v21
	v_add_f32_e32 v18, v21, v18
	v_add_f32_e32 v21, v23, v32
	;; [unrolled: 1-line block ×3, first 2 shown]
	v_sub_f32_e32 v22, v21, v23
	v_mul_f32_e32 v18, v42, v18
	v_sub_f32_e32 v22, v32, v22
	v_add_f32_e32 v18, v22, v18
	v_cvt_f32_i32_e32 v17, v17
	v_add_f32_e32 v22, v21, v18
	v_mul_f32_e32 v23, v22, v22
	v_mov_b32_e32 v24, 0x3ecc95a3
	v_fmac_f32_e32 v24, 0x3e9b6dac, v23
	v_mov_b32_e32 v32, 0x3f2aaada
	v_fmac_f32_e32 v32, v23, v24
	s_mov_b32 s0, 0x3f317218
	v_mul_f32_e32 v24, 0x3f317218, v17
	v_fma_f32 v42, v17, s0, -v24
	v_fmac_f32_e32 v42, 0xb102e308, v17
	v_sub_f32_e32 v17, v22, v21
	v_sub_f32_e32 v17, v18, v17
	v_add_f32_e32 v18, v24, v42
	v_sub_f32_e32 v21, v18, v24
	v_ldexp_f32 v24, v22, 1
	v_mul_f32_e32 v22, v22, v23
	v_mul_f32_e32 v22, v22, v32
	v_add_f32_e32 v23, v24, v22
	v_sub_f32_e32 v24, v23, v24
	v_ldexp_f32 v17, v17, 1
	v_sub_f32_e32 v22, v22, v24
	v_add_f32_e32 v17, v17, v22
	v_add_f32_e32 v22, v23, v17
	v_sub_f32_e32 v23, v22, v23
	v_sub_f32_e32 v17, v17, v23
	v_add_f32_e32 v23, v18, v22
	v_sub_f32_e32 v24, v23, v18
	v_sub_f32_e32 v32, v23, v24
	;; [unrolled: 1-line block ×5, first 2 shown]
	v_add_f32_e32 v18, v22, v18
	v_add_f32_e32 v22, v21, v17
	v_sub_f32_e32 v24, v22, v21
	v_sub_f32_e32 v32, v22, v24
	;; [unrolled: 1-line block ×4, first 2 shown]
	v_add_f32_e32 v18, v22, v18
	v_add_f32_e32 v17, v17, v21
	;; [unrolled: 1-line block ×3, first 2 shown]
	v_sub_f32_e32 v22, v21, v23
	v_sub_f32_e32 v18, v18, v22
	v_add_f32_e32 v17, v17, v18
	v_add_f32_e32 v17, v21, v17
	v_cmp_neq_f32_e64 s[0:1], s3, v20
	v_cndmask_b32_e64 v17, v19, v17, s[0:1]
	s_mov_b32 s0, 0x33800000
	v_cmp_gt_f32_e64 s[0:1], s0, v20
	v_cndmask_b32_e64 v66, v17, v20, s[0:1]
.LBB8_16:
	s_or_b64 exec, exec, s[8:9]
	v_add_co_u32_e64 v25, s[0:1], s30, v25
	v_mov_b32_e32 v17, s31
	v_addc_co_u32_e64 v26, s[0:1], v26, v17, s[0:1]
	global_load_dword v17, v[25:26], off
	s_mov_b32 s3, 0x3fb8aa3b
	s_mov_b32 s7, 0xc2ce8ed0
	;; [unrolled: 1-line block ×3, first 2 shown]
	v_mov_b32_e32 v69, 0x7f800000
	v_mov_b32_e32 v54, 0
	s_waitcnt vmcnt(0)
	v_mul_f32_e32 v67, v66, v17
	v_mul_f32_e32 v17, v66, v13
	;; [unrolled: 1-line block ×3, first 2 shown]
	v_fma_f32 v19, v17, s3, -v18
	v_rndne_f32_e32 v20, v18
	v_fmac_f32_e32 v19, 0x32a5705f, v17
	v_sub_f32_e32 v18, v18, v20
	v_add_f32_e32 v18, v18, v19
	v_exp_f32_e32 v18, v18
	v_cvt_i32_f32_e32 v19, v20
	v_cmp_ngt_f32_e64 s[0:1], s7, v17
	v_ldexp_f32 v18, v18, v19
	v_cndmask_b32_e64 v18, 0, v18, s[0:1]
	v_cmp_nlt_f32_e64 s[0:1], s8, v17
	v_cndmask_b32_e64 v42, v69, v18, s[0:1]
	ds_read_b128 v[48:51], v54
	ds_read_b128 v[70:73], v54 offset:16
	ds_read_b128 v[21:24], v54 offset:32
	;; [unrolled: 1-line block ×4, first 2 shown]
	s_waitcnt lgkmcnt(4)
	v_mul_f32_e32 v32, v67, v48
	v_fmac_f32_e32 v32, v55, v42
	v_mul_f32_e32 v42, v66, v14
	v_mul_f32_e32 v43, 0x3fb8aa3b, v42
	v_fma_f32 v44, v42, s3, -v43
	v_rndne_f32_e32 v48, v43
	v_fmac_f32_e32 v44, 0x32a5705f, v42
	v_sub_f32_e32 v43, v43, v48
	v_add_f32_e32 v43, v43, v44
	v_exp_f32_e32 v43, v43
	v_cvt_i32_f32_e32 v44, v48
	v_cmp_ngt_f32_e64 s[0:1], s7, v42
	v_ldexp_f32 v43, v43, v44
	v_cndmask_b32_e64 v43, 0, v43, s[0:1]
	v_cmp_nlt_f32_e64 s[0:1], s8, v42
	v_cndmask_b32_e64 v43, v69, v43, s[0:1]
	v_mul_f32_e32 v42, v67, v49
	v_fmac_f32_e32 v42, v46, v43
	v_mul_f32_e32 v43, v66, v15
	v_mul_f32_e32 v44, 0x3fb8aa3b, v43
	v_fma_f32 v46, v43, s3, -v44
	v_rndne_f32_e32 v48, v44
	v_fmac_f32_e32 v46, 0x32a5705f, v43
	v_sub_f32_e32 v44, v44, v48
	v_add_f32_e32 v44, v44, v46
	v_exp_f32_e32 v44, v44
	v_cvt_i32_f32_e32 v46, v48
	v_cmp_ngt_f32_e64 s[0:1], s7, v43
	v_ldexp_f32 v44, v44, v46
	v_cndmask_b32_e64 v44, 0, v44, s[0:1]
	v_cmp_nlt_f32_e64 s[0:1], s8, v43
	v_cndmask_b32_e64 v44, v69, v44, s[0:1]
	;; [unrolled: 16-line block ×3, first 2 shown]
	v_mul_f32_e32 v44, v67, v51
	v_fmac_f32_e32 v44, v56, v45
	v_mul_f32_e32 v45, v66, v9
	v_mul_f32_e32 v46, 0x3fb8aa3b, v45
	v_fma_f32 v48, v45, s3, -v46
	v_rndne_f32_e32 v49, v46
	v_fmac_f32_e32 v48, 0x32a5705f, v45
	v_sub_f32_e32 v46, v46, v49
	v_add_f32_e32 v46, v46, v48
	v_exp_f32_e32 v46, v46
	v_cvt_i32_f32_e32 v48, v49
	v_cmp_ngt_f32_e64 s[0:1], s7, v45
	v_ldexp_f32 v46, v46, v48
	ds_read_b128 v[48:51], v54 offset:80
	s_waitcnt lgkmcnt(1)
	v_fma_f32 v68, v74, v32, 0
	v_fmac_f32_e32 v68, v75, v42
	v_cndmask_b32_e64 v46, 0, v46, s[0:1]
	v_cmp_nlt_f32_e64 s[0:1], s8, v45
	v_fmac_f32_e32 v68, v76, v43
	v_cndmask_b32_e64 v46, v69, v46, s[0:1]
	v_mul_f32_e32 v45, v67, v70
	v_fmac_f32_e32 v68, v77, v44
	v_fmac_f32_e32 v45, v57, v46
	v_mul_f32_e32 v46, v66, v10
	s_waitcnt lgkmcnt(0)
	v_fmac_f32_e32 v68, v48, v45
	v_mul_f32_e32 v48, 0x3fb8aa3b, v46
	v_fma_f32 v53, v46, s3, -v48
	v_rndne_f32_e32 v55, v48
	v_fmac_f32_e32 v53, 0x32a5705f, v46
	v_sub_f32_e32 v48, v48, v55
	v_add_f32_e32 v48, v48, v53
	v_exp_f32_e32 v48, v48
	v_cvt_i32_f32_e32 v53, v55
	v_cmp_ngt_f32_e64 s[0:1], s7, v46
	v_ldexp_f32 v48, v48, v53
	v_cndmask_b32_e64 v48, 0, v48, s[0:1]
	v_cmp_nlt_f32_e64 s[0:1], s8, v46
	v_cndmask_b32_e64 v48, v69, v48, s[0:1]
	v_mul_f32_e32 v46, v67, v71
	v_fmac_f32_e32 v46, v47, v48
	v_mul_f32_e32 v47, v66, v11
	v_mul_f32_e32 v48, 0x3fb8aa3b, v47
	v_fmac_f32_e32 v68, v49, v46
	v_fma_f32 v49, v47, s3, -v48
	v_rndne_f32_e32 v53, v48
	v_fmac_f32_e32 v49, 0x32a5705f, v47
	v_sub_f32_e32 v48, v48, v53
	v_add_f32_e32 v48, v48, v49
	v_exp_f32_e32 v48, v48
	v_cvt_i32_f32_e32 v49, v53
	v_cmp_ngt_f32_e64 s[0:1], s7, v47
	v_ldexp_f32 v48, v48, v49
	v_cndmask_b32_e64 v48, 0, v48, s[0:1]
	v_cmp_nlt_f32_e64 s[0:1], s8, v47
	v_cndmask_b32_e64 v48, v69, v48, s[0:1]
	v_mul_f32_e32 v47, v67, v72
	v_fmac_f32_e32 v47, v58, v48
	v_mul_f32_e32 v48, v66, v12
	v_mul_f32_e32 v49, 0x3fb8aa3b, v48
	v_fmac_f32_e32 v68, v50, v47
	v_fma_f32 v50, v48, s3, -v49
	v_rndne_f32_e32 v53, v49
	v_fmac_f32_e32 v50, 0x32a5705f, v48
	v_sub_f32_e32 v49, v49, v53
	v_add_f32_e32 v49, v49, v50
	v_exp_f32_e32 v49, v49
	v_cvt_i32_f32_e32 v50, v53
	v_cmp_ngt_f32_e64 s[0:1], s7, v48
	ds_read_b128 v[55:58], v54 offset:96
	v_mul_f32_e32 v53, v67, v17
	v_ldexp_f32 v49, v49, v50
	v_cndmask_b32_e64 v49, 0, v49, s[0:1]
	v_cmp_nlt_f32_e64 s[0:1], s8, v48
	v_cndmask_b32_e64 v49, v69, v49, s[0:1]
	v_mul_f32_e32 v48, v67, v73
	v_fmac_f32_e32 v48, v31, v49
	v_mul_f32_e32 v31, v66, v5
	v_mul_f32_e32 v49, 0x3fb8aa3b, v31
	v_fmac_f32_e32 v68, v51, v48
	v_fma_f32 v50, v31, s3, -v49
	v_rndne_f32_e32 v51, v49
	v_fmac_f32_e32 v50, 0x32a5705f, v31
	v_sub_f32_e32 v49, v49, v51
	v_add_f32_e32 v49, v49, v50
	v_exp_f32_e32 v49, v49
	v_cvt_i32_f32_e32 v50, v51
	v_cmp_ngt_f32_e64 s[0:1], s7, v31
	v_mul_f32_e32 v17, v66, v2
	v_ldexp_f32 v49, v49, v50
	v_cndmask_b32_e64 v49, 0, v49, s[0:1]
	v_cmp_nlt_f32_e64 s[0:1], s8, v31
	v_cndmask_b32_e64 v31, v69, v49, s[0:1]
	v_mul_f32_e32 v49, v67, v21
	v_mul_f32_e32 v21, v66, v6
	v_fmac_f32_e32 v49, v59, v31
	v_mul_f32_e32 v31, 0x3fb8aa3b, v21
	v_fma_f32 v50, v21, s3, -v31
	v_rndne_f32_e32 v51, v31
	v_fmac_f32_e32 v50, 0x32a5705f, v21
	v_sub_f32_e32 v31, v31, v51
	v_add_f32_e32 v31, v31, v50
	v_exp_f32_e32 v31, v31
	v_cvt_i32_f32_e32 v50, v51
	v_cmp_ngt_f32_e64 s[0:1], s7, v21
	v_ldexp_f32 v31, v31, v50
	v_cndmask_b32_e64 v31, 0, v31, s[0:1]
	v_cmp_nlt_f32_e64 s[0:1], s8, v21
	v_cndmask_b32_e64 v21, v69, v31, s[0:1]
	v_mul_f32_e32 v50, v67, v22
	v_fmac_f32_e32 v50, v52, v21
	v_mul_f32_e32 v21, v66, v7
	v_mul_f32_e32 v22, 0x3fb8aa3b, v21
	v_fma_f32 v31, v21, s3, -v22
	v_rndne_f32_e32 v51, v22
	v_fmac_f32_e32 v31, 0x32a5705f, v21
	v_sub_f32_e32 v22, v22, v51
	v_add_f32_e32 v22, v22, v31
	v_exp_f32_e32 v22, v22
	v_cvt_i32_f32_e32 v31, v51
	v_cmp_ngt_f32_e64 s[0:1], s7, v21
	v_mul_f32_e32 v51, v67, v23
	v_mul_f32_e32 v52, v67, v24
	v_ldexp_f32 v22, v22, v31
	v_cndmask_b32_e64 v22, 0, v22, s[0:1]
	v_cmp_nlt_f32_e64 s[0:1], s8, v21
	v_cndmask_b32_e64 v21, v69, v22, s[0:1]
	v_fmac_f32_e32 v51, v60, v21
	v_mul_f32_e32 v21, v66, v8
	v_mul_f32_e32 v22, 0x3fb8aa3b, v21
	v_fma_f32 v23, v21, s3, -v22
	v_rndne_f32_e32 v31, v22
	v_fmac_f32_e32 v23, 0x32a5705f, v21
	v_sub_f32_e32 v22, v22, v31
	v_add_f32_e32 v22, v22, v23
	v_exp_f32_e32 v22, v22
	v_cvt_i32_f32_e32 v23, v31
	v_cmp_ngt_f32_e64 s[0:1], s7, v21
	v_ldexp_f32 v22, v22, v23
	v_cndmask_b32_e64 v22, 0, v22, s[0:1]
	v_cmp_nlt_f32_e64 s[0:1], s8, v21
	v_cndmask_b32_e64 v21, v69, v22, s[0:1]
	v_fmac_f32_e32 v52, v61, v21
	v_mul_f32_e32 v21, v66, v1
	v_mul_f32_e32 v22, 0x3fb8aa3b, v21
	v_fma_f32 v23, v21, s3, -v22
	v_rndne_f32_e32 v24, v22
	v_fmac_f32_e32 v23, 0x32a5705f, v21
	v_sub_f32_e32 v22, v22, v24
	v_add_f32_e32 v22, v22, v23
	v_exp_f32_e32 v22, v22
	v_cvt_i32_f32_e32 v23, v24
	v_cmp_ngt_f32_e64 s[0:1], s7, v21
	v_ldexp_f32 v22, v22, v23
	v_cndmask_b32_e64 v22, 0, v22, s[0:1]
	v_cmp_nlt_f32_e64 s[0:1], s8, v21
	v_cndmask_b32_e64 v21, v69, v22, s[0:1]
	v_fmac_f32_e32 v53, v62, v21
	ds_read_b128 v[21:24], v54 offset:112
	s_waitcnt lgkmcnt(1)
	v_fmac_f32_e32 v68, v55, v49
	v_fmac_f32_e32 v68, v56, v50
	;; [unrolled: 1-line block ×4, first 2 shown]
	s_waitcnt lgkmcnt(0)
	v_fmac_f32_e32 v68, v21, v53
	v_mul_f32_e32 v21, 0x3fb8aa3b, v17
	v_fma_f32 v31, v17, s3, -v21
	v_rndne_f32_e32 v54, v21
	v_fmac_f32_e32 v31, 0x32a5705f, v17
	v_sub_f32_e32 v21, v21, v54
	v_add_f32_e32 v21, v21, v31
	v_exp_f32_e32 v21, v21
	v_cvt_i32_f32_e32 v31, v54
	v_cmp_ngt_f32_e64 s[0:1], s7, v17
	v_mul_f32_e32 v54, v67, v18
	v_mul_f32_e32 v55, v67, v19
	v_ldexp_f32 v21, v21, v31
	v_cndmask_b32_e64 v21, 0, v21, s[0:1]
	v_cmp_nlt_f32_e64 s[0:1], s8, v17
	v_cndmask_b32_e64 v17, v69, v21, s[0:1]
	v_fmac_f32_e32 v54, v63, v17
	v_mul_f32_e32 v17, v66, v3
	v_mul_f32_e32 v18, 0x3fb8aa3b, v17
	v_fmac_f32_e32 v68, v22, v54
	v_fma_f32 v21, v17, s3, -v18
	v_rndne_f32_e32 v22, v18
	v_fmac_f32_e32 v21, 0x32a5705f, v17
	v_sub_f32_e32 v18, v18, v22
	v_add_f32_e32 v18, v18, v21
	v_exp_f32_e32 v18, v18
	v_cvt_i32_f32_e32 v21, v22
	v_cmp_ngt_f32_e64 s[0:1], s7, v17
	v_mul_f32_e32 v31, v67, v20
	v_ldexp_f32 v18, v18, v21
	v_cndmask_b32_e64 v18, 0, v18, s[0:1]
	v_cmp_nlt_f32_e64 s[0:1], s8, v17
	v_cndmask_b32_e64 v17, v69, v18, s[0:1]
	v_fmac_f32_e32 v55, v64, v17
	v_mul_f32_e32 v17, v66, v4
	v_mul_f32_e32 v18, 0x3fb8aa3b, v17
	v_fma_f32 v19, v17, s3, -v18
	v_rndne_f32_e32 v21, v18
	v_fmac_f32_e32 v19, 0x32a5705f, v17
	v_sub_f32_e32 v18, v18, v21
	v_add_f32_e32 v18, v18, v19
	v_exp_f32_e32 v18, v18
	v_cvt_i32_f32_e32 v19, v21
	v_cmp_ngt_f32_e64 s[0:1], s7, v17
	v_fmac_f32_e32 v68, v23, v55
	v_ldexp_f32 v18, v18, v19
	v_cndmask_b32_e64 v18, 0, v18, s[0:1]
	v_cmp_nlt_f32_e64 s[0:1], s8, v17
	v_cndmask_b32_e64 v17, v69, v18, s[0:1]
	v_fmac_f32_e32 v31, v65, v17
	v_mad_i64_i32 v[17:18], s[0:1], s2, 12, v[29:30]
	v_fmac_f32_e32 v68, v24, v31
	global_store_dword v[17:18], v68, off
	s_waitcnt vmcnt(0)
	s_barrier
	s_and_saveexec_b64 s[8:9], vcc
	s_cbranch_execz .LBB8_18
; %bb.17:
	s_lshl_b64 s[0:1], s[18:19], 4
	v_mov_b32_e32 v18, s1
	v_add_co_u32_e64 v17, s[0:1], s0, v35
	v_addc_co_u32_e64 v18, s[0:1], v36, v18, s[0:1]
	s_lshl_b64 s[0:1], s[20:21], 4
	global_load_dword v19, v[17:18], off
	v_mov_b32_e32 v18, s1
	v_add_co_u32_e64 v17, s[0:1], s0, v37
	v_addc_co_u32_e64 v18, s[0:1], v38, v18, s[0:1]
	global_load_dword v17, v[17:18], off
	s_waitcnt vmcnt(1)
	ds_write_b32 v0, v19
	s_waitcnt vmcnt(0)
	ds_write_b32 v41, v17
.LBB8_18:
	s_or_b64 exec, exec, s[8:9]
	v_mov_b32_e32 v17, s29
	v_add_co_u32_e64 v27, s[0:1], s28, v27
	v_addc_co_u32_e64 v28, s[0:1], v28, v17, s[0:1]
	s_waitcnt lgkmcnt(0)
	s_barrier
	global_load_dword v57, v[27:28], off
	s_mov_b32 s0, 0x41a00000
	s_waitcnt vmcnt(0)
	v_cmp_ge_f32_e64 s[0:1], s0, v57
	s_and_saveexec_b64 s[8:9], s[0:1]
	s_cbranch_execz .LBB8_20
; %bb.19:
	v_mul_f32_e32 v17, 0x3fb8aa3b, v57
	s_mov_b32 s0, 0x3fb8aa3b
	v_rndne_f32_e32 v18, v17
	v_sub_f32_e32 v19, v17, v18
	v_fma_f32 v17, v57, s0, -v17
	v_fmac_f32_e32 v17, 0x32a5705f, v57
	v_add_f32_e32 v17, v19, v17
	v_exp_f32_e32 v17, v17
	v_cvt_i32_f32_e32 v18, v18
	s_mov_b32 s0, 0xc2ce8ed0
	v_cmp_ngt_f32_e64 s[0:1], s0, v57
	v_mov_b32_e32 v19, 0x7f800000
	v_ldexp_f32 v17, v17, v18
	v_cndmask_b32_e64 v17, 0, v17, s[0:1]
	s_mov_b32 s0, 0x42b17218
	v_cmp_nlt_f32_e64 s[0:1], s0, v57
	v_cndmask_b32_e64 v20, v19, v17, s[0:1]
	v_add_f32_e32 v21, 1.0, v20
	v_cvt_f64_f32_e32 v[17:18], v21
	v_add_f32_e32 v22, -1.0, v21
	v_sub_f32_e32 v23, v22, v21
	v_sub_f32_e32 v22, v20, v22
	v_frexp_exp_i32_f64_e32 v17, v[17:18]
	v_add_f32_e32 v18, 1.0, v23
	v_add_f32_e32 v18, v22, v18
	v_frexp_mant_f32_e32 v22, v21
	s_mov_b32 s0, 0x3f2aaaab
	v_cmp_gt_f32_e64 s[0:1], s0, v22
	s_mov_b32 s3, 0x7f800000
	v_subbrev_co_u32_e64 v17, s[0:1], 0, v17, s[0:1]
	v_sub_u32_e32 v22, 0, v17
	v_ldexp_f32 v21, v21, v22
	v_ldexp_f32 v18, v18, v22
	v_add_f32_e32 v22, -1.0, v21
	v_add_f32_e32 v56, 1.0, v21
	v_add_f32_e32 v23, 1.0, v22
	v_add_f32_e32 v57, -1.0, v56
	v_sub_f32_e32 v23, v21, v23
	v_sub_f32_e32 v21, v21, v57
	v_add_f32_e32 v23, v18, v23
	v_add_f32_e32 v18, v18, v21
	;; [unrolled: 1-line block ×3, first 2 shown]
	v_rcp_f32_e32 v57, v21
	v_add_f32_e32 v24, v22, v23
	v_sub_f32_e32 v22, v22, v24
	v_add_f32_e32 v22, v23, v22
	v_sub_f32_e32 v23, v56, v21
	v_add_f32_e32 v18, v18, v23
	v_mul_f32_e32 v23, v24, v57
	v_mul_f32_e32 v56, v21, v23
	v_fma_f32 v58, v23, v21, -v56
	v_fmac_f32_e32 v58, v23, v18
	v_add_f32_e32 v59, v56, v58
	v_sub_f32_e32 v60, v24, v59
	v_sub_f32_e32 v24, v24, v60
	;; [unrolled: 1-line block ×4, first 2 shown]
	v_add_f32_e32 v22, v22, v24
	v_sub_f32_e32 v24, v56, v58
	v_add_f32_e32 v22, v24, v22
	v_add_f32_e32 v24, v60, v22
	v_mul_f32_e32 v56, v57, v24
	v_mul_f32_e32 v58, v21, v56
	v_fma_f32 v21, v56, v21, -v58
	v_fmac_f32_e32 v21, v56, v18
	v_sub_f32_e32 v18, v60, v24
	v_add_f32_e32 v18, v22, v18
	v_add_f32_e32 v22, v58, v21
	v_sub_f32_e32 v59, v24, v22
	v_sub_f32_e32 v24, v24, v59
	;; [unrolled: 1-line block ×4, first 2 shown]
	v_add_f32_e32 v18, v18, v22
	v_sub_f32_e32 v21, v58, v21
	v_add_f32_e32 v18, v21, v18
	v_add_f32_e32 v21, v23, v56
	;; [unrolled: 1-line block ×3, first 2 shown]
	v_sub_f32_e32 v22, v21, v23
	v_mul_f32_e32 v18, v57, v18
	v_sub_f32_e32 v22, v56, v22
	v_add_f32_e32 v18, v22, v18
	v_cvt_f32_i32_e32 v17, v17
	v_add_f32_e32 v22, v21, v18
	v_mul_f32_e32 v23, v22, v22
	v_mov_b32_e32 v24, 0x3ecc95a3
	v_fmac_f32_e32 v24, 0x3e9b6dac, v23
	v_mov_b32_e32 v56, 0x3f2aaada
	v_fmac_f32_e32 v56, v23, v24
	s_mov_b32 s0, 0x3f317218
	v_mul_f32_e32 v24, 0x3f317218, v17
	v_fma_f32 v57, v17, s0, -v24
	v_fmac_f32_e32 v57, 0xb102e308, v17
	v_sub_f32_e32 v17, v22, v21
	v_sub_f32_e32 v17, v18, v17
	v_add_f32_e32 v18, v24, v57
	v_sub_f32_e32 v21, v18, v24
	v_ldexp_f32 v24, v22, 1
	v_mul_f32_e32 v22, v22, v23
	v_mul_f32_e32 v22, v22, v56
	v_add_f32_e32 v23, v24, v22
	v_sub_f32_e32 v24, v23, v24
	v_ldexp_f32 v17, v17, 1
	v_sub_f32_e32 v22, v22, v24
	v_add_f32_e32 v17, v17, v22
	v_add_f32_e32 v22, v23, v17
	v_sub_f32_e32 v23, v22, v23
	v_sub_f32_e32 v17, v17, v23
	v_add_f32_e32 v23, v18, v22
	v_sub_f32_e32 v24, v23, v18
	v_sub_f32_e32 v56, v23, v24
	;; [unrolled: 1-line block ×5, first 2 shown]
	v_add_f32_e32 v18, v22, v18
	v_add_f32_e32 v22, v21, v17
	v_sub_f32_e32 v24, v22, v21
	v_sub_f32_e32 v56, v22, v24
	v_sub_f32_e32 v21, v21, v56
	v_sub_f32_e32 v17, v17, v24
	v_add_f32_e32 v18, v22, v18
	v_add_f32_e32 v17, v17, v21
	;; [unrolled: 1-line block ×3, first 2 shown]
	v_sub_f32_e32 v22, v21, v23
	v_sub_f32_e32 v18, v18, v22
	v_add_f32_e32 v17, v17, v18
	v_add_f32_e32 v17, v21, v17
	v_cmp_neq_f32_e64 s[0:1], s3, v20
	v_cndmask_b32_e64 v17, v19, v17, s[0:1]
	s_mov_b32 s0, 0x33800000
	v_cmp_gt_f32_e64 s[0:1], s0, v20
	v_cndmask_b32_e64 v57, v17, v20, s[0:1]
.LBB8_20:
	s_or_b64 exec, exec, s[8:9]
	v_add_co_u32_e64 v25, s[0:1], s30, v25
	v_mov_b32_e32 v17, s31
	v_addc_co_u32_e64 v26, s[0:1], v26, v17, s[0:1]
	global_load_dword v17, v[25:26], off
	s_mov_b32 s3, 0x3fb8aa3b
	s_mov_b32 s8, 0x42b17218
	v_mov_b32_e32 v60, 0x7f800000
	v_mov_b32_e32 v61, 0
	s_ashr_i64 s[4:5], s[4:5], 28
	s_waitcnt vmcnt(0)
	v_mul_f32_e32 v58, v57, v17
	v_mul_f32_e32 v17, v57, v13
	;; [unrolled: 1-line block ×3, first 2 shown]
	v_fma_f32 v19, v17, s3, -v18
	v_rndne_f32_e32 v20, v18
	v_fmac_f32_e32 v19, 0x32a5705f, v17
	v_sub_f32_e32 v18, v18, v20
	v_add_f32_e32 v18, v18, v19
	v_exp_f32_e32 v18, v18
	v_cvt_i32_f32_e32 v19, v20
	v_cmp_ngt_f32_e64 s[0:1], s7, v17
	v_ldexp_f32 v18, v18, v19
	v_cndmask_b32_e64 v18, 0, v18, s[0:1]
	v_cmp_nlt_f32_e64 s[0:1], s8, v17
	v_cndmask_b32_e64 v59, v60, v18, s[0:1]
	ds_read_b128 v[62:65], v61
	ds_read_b128 v[66:69], v61 offset:16
	ds_read_b128 v[21:24], v61 offset:32
	;; [unrolled: 1-line block ×4, first 2 shown]
	s_waitcnt lgkmcnt(4)
	v_mul_f32_e32 v56, v58, v62
	v_fmac_f32_e32 v56, v32, v59
	v_mul_f32_e32 v32, v57, v14
	v_mul_f32_e32 v62, 0x3fb8aa3b, v32
	s_waitcnt lgkmcnt(0)
	v_fma_f32 v59, v70, v56, 0
	v_fma_f32 v70, v32, s3, -v62
	v_rndne_f32_e32 v74, v62
	v_fmac_f32_e32 v70, 0x32a5705f, v32
	v_sub_f32_e32 v62, v62, v74
	v_add_f32_e32 v62, v62, v70
	v_exp_f32_e32 v62, v62
	v_cvt_i32_f32_e32 v70, v74
	v_cmp_ngt_f32_e64 s[0:1], s7, v32
	v_ldexp_f32 v62, v62, v70
	v_cndmask_b32_e64 v62, 0, v62, s[0:1]
	v_cmp_nlt_f32_e64 s[0:1], s8, v32
	v_cndmask_b32_e64 v62, v60, v62, s[0:1]
	v_mul_f32_e32 v32, v58, v63
	v_fmac_f32_e32 v32, v42, v62
	v_mul_f32_e32 v42, v57, v15
	v_mul_f32_e32 v62, 0x3fb8aa3b, v42
	v_fma_f32 v63, v42, s3, -v62
	v_rndne_f32_e32 v70, v62
	v_fmac_f32_e32 v63, 0x32a5705f, v42
	v_sub_f32_e32 v62, v62, v70
	v_add_f32_e32 v62, v62, v63
	v_exp_f32_e32 v62, v62
	v_cvt_i32_f32_e32 v63, v70
	v_cmp_ngt_f32_e64 s[0:1], s7, v42
	v_fmac_f32_e32 v59, v71, v32
	v_ldexp_f32 v62, v62, v63
	v_cndmask_b32_e64 v62, 0, v62, s[0:1]
	v_cmp_nlt_f32_e64 s[0:1], s8, v42
	v_cndmask_b32_e64 v62, v60, v62, s[0:1]
	v_mul_f32_e32 v42, v58, v64
	v_fmac_f32_e32 v42, v43, v62
	v_mul_f32_e32 v43, v57, v16
	v_mul_f32_e32 v62, 0x3fb8aa3b, v43
	v_fma_f32 v63, v43, s3, -v62
	v_rndne_f32_e32 v64, v62
	v_fmac_f32_e32 v63, 0x32a5705f, v43
	v_sub_f32_e32 v62, v62, v64
	v_add_f32_e32 v62, v62, v63
	v_exp_f32_e32 v62, v62
	v_cvt_i32_f32_e32 v63, v64
	v_cmp_ngt_f32_e64 s[0:1], s7, v43
	v_fmac_f32_e32 v59, v72, v42
	;; [unrolled: 17-line block ×3, first 2 shown]
	v_ldexp_f32 v62, v62, v63
	v_cndmask_b32_e64 v62, 0, v62, s[0:1]
	v_cmp_nlt_f32_e64 s[0:1], s8, v44
	v_cndmask_b32_e64 v62, v60, v62, s[0:1]
	v_mul_f32_e32 v44, v58, v66
	v_fmac_f32_e32 v44, v45, v62
	ds_read_b128 v[62:65], v61 offset:80
	v_mul_f32_e32 v45, v57, v10
	v_cmp_ngt_f32_e64 s[0:1], s7, v45
	s_waitcnt lgkmcnt(0)
	v_fmac_f32_e32 v59, v62, v44
	v_mul_f32_e32 v62, 0x3fb8aa3b, v45
	v_fma_f32 v66, v45, s3, -v62
	v_rndne_f32_e32 v70, v62
	v_fmac_f32_e32 v66, 0x32a5705f, v45
	v_sub_f32_e32 v62, v62, v70
	v_add_f32_e32 v62, v62, v66
	v_exp_f32_e32 v62, v62
	v_cvt_i32_f32_e32 v66, v70
	v_ldexp_f32 v62, v62, v66
	v_cndmask_b32_e64 v62, 0, v62, s[0:1]
	v_cmp_nlt_f32_e64 s[0:1], s8, v45
	v_cndmask_b32_e64 v62, v60, v62, s[0:1]
	v_mul_f32_e32 v45, v58, v67
	v_fmac_f32_e32 v45, v46, v62
	v_mul_f32_e32 v46, v57, v11
	v_mul_f32_e32 v62, 0x3fb8aa3b, v46
	v_fmac_f32_e32 v59, v63, v45
	v_fma_f32 v63, v46, s3, -v62
	v_rndne_f32_e32 v66, v62
	v_fmac_f32_e32 v63, 0x32a5705f, v46
	v_sub_f32_e32 v62, v62, v66
	v_add_f32_e32 v62, v62, v63
	v_exp_f32_e32 v62, v62
	v_cvt_i32_f32_e32 v63, v66
	v_cmp_ngt_f32_e64 s[0:1], s7, v46
	v_ldexp_f32 v62, v62, v63
	v_cndmask_b32_e64 v62, 0, v62, s[0:1]
	v_cmp_nlt_f32_e64 s[0:1], s8, v46
	v_cndmask_b32_e64 v62, v60, v62, s[0:1]
	v_mul_f32_e32 v46, v58, v68
	v_fmac_f32_e32 v46, v47, v62
	v_mul_f32_e32 v47, v57, v12
	v_mul_f32_e32 v62, 0x3fb8aa3b, v47
	v_fmac_f32_e32 v59, v64, v46
	v_fma_f32 v63, v47, s3, -v62
	v_rndne_f32_e32 v64, v62
	v_fmac_f32_e32 v63, 0x32a5705f, v47
	v_sub_f32_e32 v62, v62, v64
	v_add_f32_e32 v62, v62, v63
	v_exp_f32_e32 v62, v62
	v_cvt_i32_f32_e32 v63, v64
	v_cmp_ngt_f32_e64 s[0:1], s7, v47
	v_ldexp_f32 v62, v62, v63
	v_cndmask_b32_e64 v62, 0, v62, s[0:1]
	v_cmp_nlt_f32_e64 s[0:1], s8, v47
	v_cndmask_b32_e64 v62, v60, v62, s[0:1]
	v_mul_f32_e32 v47, v58, v69
	v_fmac_f32_e32 v47, v48, v62
	v_mul_f32_e32 v48, v57, v5
	v_mul_f32_e32 v62, 0x3fb8aa3b, v48
	v_fma_f32 v63, v48, s3, -v62
	v_rndne_f32_e32 v64, v62
	v_fmac_f32_e32 v63, 0x32a5705f, v48
	v_sub_f32_e32 v62, v62, v64
	v_add_f32_e32 v62, v62, v63
	v_exp_f32_e32 v62, v62
	v_cvt_i32_f32_e32 v63, v64
	v_cmp_ngt_f32_e64 s[0:1], s7, v48
	v_fmac_f32_e32 v59, v65, v47
	v_ldexp_f32 v62, v62, v63
	v_cndmask_b32_e64 v62, 0, v62, s[0:1]
	v_cmp_nlt_f32_e64 s[0:1], s8, v48
	v_cndmask_b32_e64 v62, v60, v62, s[0:1]
	v_mul_f32_e32 v48, v58, v21
	v_fmac_f32_e32 v48, v49, v62
	ds_read_b128 v[62:65], v61 offset:96
	v_mul_f32_e32 v21, v57, v6
	v_mul_f32_e32 v49, 0x3fb8aa3b, v21
	v_rndne_f32_e32 v66, v49
	v_cmp_ngt_f32_e64 s[0:1], s7, v21
	s_waitcnt lgkmcnt(0)
	v_fmac_f32_e32 v59, v62, v48
	v_fma_f32 v62, v21, s3, -v49
	v_fmac_f32_e32 v62, 0x32a5705f, v21
	v_sub_f32_e32 v49, v49, v66
	v_add_f32_e32 v49, v49, v62
	v_exp_f32_e32 v49, v49
	v_cvt_i32_f32_e32 v62, v66
	v_ldexp_f32 v49, v49, v62
	v_cndmask_b32_e64 v49, 0, v49, s[0:1]
	v_cmp_nlt_f32_e64 s[0:1], s8, v21
	v_cndmask_b32_e64 v21, v60, v49, s[0:1]
	v_mul_f32_e32 v49, v58, v22
	v_fmac_f32_e32 v49, v50, v21
	v_mul_f32_e32 v21, v57, v7
	v_mul_f32_e32 v22, 0x3fb8aa3b, v21
	v_fma_f32 v50, v21, s3, -v22
	v_rndne_f32_e32 v62, v22
	v_fmac_f32_e32 v50, 0x32a5705f, v21
	v_sub_f32_e32 v22, v22, v62
	v_add_f32_e32 v22, v22, v50
	v_exp_f32_e32 v22, v22
	v_cvt_i32_f32_e32 v50, v62
	v_cmp_ngt_f32_e64 s[0:1], s7, v21
	v_fmac_f32_e32 v59, v63, v49
	v_ldexp_f32 v22, v22, v50
	v_cndmask_b32_e64 v22, 0, v22, s[0:1]
	v_cmp_nlt_f32_e64 s[0:1], s8, v21
	v_cndmask_b32_e64 v21, v60, v22, s[0:1]
	v_mul_f32_e32 v50, v58, v23
	v_fmac_f32_e32 v50, v51, v21
	v_mul_f32_e32 v21, v57, v8
	v_mul_f32_e32 v22, 0x3fb8aa3b, v21
	v_fma_f32 v23, v21, s3, -v22
	v_rndne_f32_e32 v51, v22
	v_fmac_f32_e32 v23, 0x32a5705f, v21
	v_sub_f32_e32 v22, v22, v51
	v_add_f32_e32 v22, v22, v23
	v_exp_f32_e32 v22, v22
	v_cvt_i32_f32_e32 v23, v51
	v_cmp_ngt_f32_e64 s[0:1], s7, v21
	v_mul_f32_e32 v51, v58, v24
	v_fmac_f32_e32 v59, v64, v50
	v_ldexp_f32 v22, v22, v23
	v_cndmask_b32_e64 v22, 0, v22, s[0:1]
	v_cmp_nlt_f32_e64 s[0:1], s8, v21
	v_cndmask_b32_e64 v21, v60, v22, s[0:1]
	v_fmac_f32_e32 v51, v52, v21
	v_mul_f32_e32 v21, v57, v1
	v_mul_f32_e32 v22, 0x3fb8aa3b, v21
	v_fma_f32 v23, v21, s3, -v22
	v_rndne_f32_e32 v24, v22
	v_fmac_f32_e32 v23, 0x32a5705f, v21
	v_sub_f32_e32 v22, v22, v24
	v_add_f32_e32 v22, v22, v23
	v_exp_f32_e32 v22, v22
	v_cvt_i32_f32_e32 v23, v24
	v_cmp_ngt_f32_e64 s[0:1], s7, v21
	v_mul_f32_e32 v52, v58, v17
	v_fmac_f32_e32 v59, v65, v51
	v_ldexp_f32 v22, v22, v23
	v_cndmask_b32_e64 v22, 0, v22, s[0:1]
	v_cmp_nlt_f32_e64 s[0:1], s8, v21
	v_cndmask_b32_e64 v21, v60, v22, s[0:1]
	v_fmac_f32_e32 v52, v53, v21
	ds_read_b128 v[21:24], v61 offset:112
	v_mul_f32_e32 v17, v57, v2
	v_cmp_ngt_f32_e64 s[0:1], s7, v17
	s_waitcnt lgkmcnt(0)
	v_fmac_f32_e32 v59, v21, v52
	v_mul_f32_e32 v21, 0x3fb8aa3b, v17
	v_fma_f32 v53, v17, s3, -v21
	v_rndne_f32_e32 v61, v21
	v_fmac_f32_e32 v53, 0x32a5705f, v17
	v_sub_f32_e32 v21, v21, v61
	v_add_f32_e32 v21, v21, v53
	v_exp_f32_e32 v21, v21
	v_cvt_i32_f32_e32 v53, v61
	v_ldexp_f32 v21, v21, v53
	v_cndmask_b32_e64 v21, 0, v21, s[0:1]
	v_cmp_nlt_f32_e64 s[0:1], s8, v17
	v_cndmask_b32_e64 v17, v60, v21, s[0:1]
	v_mul_f32_e32 v53, v58, v18
	v_fmac_f32_e32 v53, v54, v17
	v_mul_f32_e32 v17, v57, v3
	v_mul_f32_e32 v18, 0x3fb8aa3b, v17
	v_fmac_f32_e32 v59, v22, v53
	v_fma_f32 v21, v17, s3, -v18
	v_rndne_f32_e32 v22, v18
	v_fmac_f32_e32 v21, 0x32a5705f, v17
	v_sub_f32_e32 v18, v18, v22
	v_add_f32_e32 v18, v18, v21
	v_exp_f32_e32 v18, v18
	v_cvt_i32_f32_e32 v21, v22
	v_cmp_ngt_f32_e64 s[0:1], s7, v17
	v_mul_f32_e32 v54, v58, v19
	v_ldexp_f32 v18, v18, v21
	v_cndmask_b32_e64 v18, 0, v18, s[0:1]
	v_cmp_nlt_f32_e64 s[0:1], s8, v17
	v_cndmask_b32_e64 v17, v60, v18, s[0:1]
	v_fmac_f32_e32 v54, v55, v17
	v_mul_f32_e32 v17, v57, v4
	v_mul_f32_e32 v18, 0x3fb8aa3b, v17
	v_fma_f32 v19, v17, s3, -v18
	v_rndne_f32_e32 v21, v18
	v_fmac_f32_e32 v19, 0x32a5705f, v17
	v_sub_f32_e32 v18, v18, v21
	v_add_f32_e32 v18, v18, v19
	v_exp_f32_e32 v18, v18
	v_cvt_i32_f32_e32 v19, v21
	v_cmp_ngt_f32_e64 s[0:1], s7, v17
	v_mul_f32_e32 v55, v58, v20
	v_fmac_f32_e32 v59, v23, v54
	v_ldexp_f32 v18, v18, v19
	v_cndmask_b32_e64 v18, 0, v18, s[0:1]
	v_cmp_nlt_f32_e64 s[0:1], s8, v17
	v_cndmask_b32_e64 v17, v60, v18, s[0:1]
	v_fmac_f32_e32 v55, v31, v17
	v_add_co_u32_e64 v17, s[0:1], s4, v29
	v_mov_b32_e32 v18, s5
	v_fmac_f32_e32 v59, v24, v55
	v_addc_co_u32_e64 v18, s[0:1], v30, v18, s[0:1]
	global_store_dword v[17:18], v59, off
	s_waitcnt vmcnt(0)
	s_barrier
	s_and_saveexec_b64 s[0:1], vcc
	s_cbranch_execz .LBB8_22
; %bb.21:
	v_mad_i64_i32 v[17:18], s[4:5], s18, 20, v[35:36]
	v_mad_i64_i32 v[19:20], s[4:5], s20, 20, v[37:38]
	global_load_dword v21, v[17:18], off
	global_load_dword v22, v[19:20], off
	s_waitcnt vmcnt(1)
	ds_write_b32 v0, v21
	s_waitcnt vmcnt(0)
	ds_write_b32 v41, v22
.LBB8_22:
	s_or_b64 exec, exec, s[0:1]
	v_mov_b32_e32 v17, s29
	v_add_co_u32_e64 v27, s[0:1], s28, v27
	v_addc_co_u32_e64 v28, s[0:1], v28, v17, s[0:1]
	s_waitcnt lgkmcnt(0)
	s_barrier
	global_load_dword v57, v[27:28], off
	s_mov_b32 s0, 0x41a00000
	s_waitcnt vmcnt(0)
	v_cmp_ge_f32_e64 s[0:1], s0, v57
	s_and_saveexec_b64 s[4:5], s[0:1]
	s_cbranch_execz .LBB8_24
; %bb.23:
	v_mul_f32_e32 v17, 0x3fb8aa3b, v57
	s_mov_b32 s0, 0x3fb8aa3b
	v_rndne_f32_e32 v18, v17
	v_sub_f32_e32 v19, v17, v18
	v_fma_f32 v17, v57, s0, -v17
	v_fmac_f32_e32 v17, 0x32a5705f, v57
	v_add_f32_e32 v17, v19, v17
	v_exp_f32_e32 v17, v17
	v_cvt_i32_f32_e32 v18, v18
	s_mov_b32 s0, 0xc2ce8ed0
	v_cmp_ngt_f32_e64 s[0:1], s0, v57
	v_mov_b32_e32 v19, 0x7f800000
	v_ldexp_f32 v17, v17, v18
	v_cndmask_b32_e64 v17, 0, v17, s[0:1]
	s_mov_b32 s0, 0x42b17218
	v_cmp_nlt_f32_e64 s[0:1], s0, v57
	v_cndmask_b32_e64 v20, v19, v17, s[0:1]
	v_add_f32_e32 v21, 1.0, v20
	v_cvt_f64_f32_e32 v[17:18], v21
	v_add_f32_e32 v22, -1.0, v21
	v_sub_f32_e32 v23, v22, v21
	v_sub_f32_e32 v22, v20, v22
	v_frexp_exp_i32_f64_e32 v17, v[17:18]
	v_add_f32_e32 v18, 1.0, v23
	v_add_f32_e32 v18, v22, v18
	v_frexp_mant_f32_e32 v22, v21
	s_mov_b32 s0, 0x3f2aaaab
	v_cmp_gt_f32_e64 s[0:1], s0, v22
	s_mov_b32 s3, 0x7f800000
	v_subbrev_co_u32_e64 v17, s[0:1], 0, v17, s[0:1]
	v_sub_u32_e32 v22, 0, v17
	v_ldexp_f32 v21, v21, v22
	v_ldexp_f32 v18, v18, v22
	v_add_f32_e32 v22, -1.0, v21
	v_add_f32_e32 v31, 1.0, v21
	v_add_f32_e32 v23, 1.0, v22
	v_add_f32_e32 v57, -1.0, v31
	v_sub_f32_e32 v23, v21, v23
	v_sub_f32_e32 v21, v21, v57
	v_add_f32_e32 v23, v18, v23
	v_add_f32_e32 v18, v18, v21
	;; [unrolled: 1-line block ×3, first 2 shown]
	v_rcp_f32_e32 v57, v21
	v_add_f32_e32 v24, v22, v23
	v_sub_f32_e32 v22, v22, v24
	v_add_f32_e32 v22, v23, v22
	v_sub_f32_e32 v23, v31, v21
	v_add_f32_e32 v18, v18, v23
	v_mul_f32_e32 v23, v24, v57
	v_mul_f32_e32 v31, v21, v23
	v_fma_f32 v58, v23, v21, -v31
	v_fmac_f32_e32 v58, v23, v18
	v_add_f32_e32 v59, v31, v58
	v_sub_f32_e32 v60, v24, v59
	v_sub_f32_e32 v24, v24, v60
	;; [unrolled: 1-line block ×4, first 2 shown]
	v_add_f32_e32 v22, v22, v24
	v_sub_f32_e32 v24, v31, v58
	v_add_f32_e32 v22, v24, v22
	v_add_f32_e32 v24, v60, v22
	v_mul_f32_e32 v31, v57, v24
	v_mul_f32_e32 v58, v21, v31
	v_fma_f32 v21, v31, v21, -v58
	v_fmac_f32_e32 v21, v31, v18
	v_sub_f32_e32 v18, v60, v24
	v_add_f32_e32 v18, v22, v18
	v_add_f32_e32 v22, v58, v21
	v_sub_f32_e32 v59, v24, v22
	v_sub_f32_e32 v24, v24, v59
	;; [unrolled: 1-line block ×4, first 2 shown]
	v_add_f32_e32 v18, v18, v22
	v_sub_f32_e32 v21, v58, v21
	v_add_f32_e32 v18, v21, v18
	v_add_f32_e32 v21, v23, v31
	v_add_f32_e32 v18, v59, v18
	v_sub_f32_e32 v22, v21, v23
	v_mul_f32_e32 v18, v57, v18
	v_sub_f32_e32 v22, v31, v22
	v_add_f32_e32 v18, v22, v18
	v_cvt_f32_i32_e32 v17, v17
	v_add_f32_e32 v22, v21, v18
	v_mul_f32_e32 v23, v22, v22
	v_mov_b32_e32 v24, 0x3ecc95a3
	v_fmac_f32_e32 v24, 0x3e9b6dac, v23
	v_mov_b32_e32 v31, 0x3f2aaada
	v_fmac_f32_e32 v31, v23, v24
	s_mov_b32 s0, 0x3f317218
	v_mul_f32_e32 v24, 0x3f317218, v17
	v_fma_f32 v57, v17, s0, -v24
	v_fmac_f32_e32 v57, 0xb102e308, v17
	v_sub_f32_e32 v17, v22, v21
	v_sub_f32_e32 v17, v18, v17
	v_add_f32_e32 v18, v24, v57
	v_sub_f32_e32 v21, v18, v24
	v_ldexp_f32 v24, v22, 1
	v_mul_f32_e32 v22, v22, v23
	v_mul_f32_e32 v22, v22, v31
	v_add_f32_e32 v23, v24, v22
	v_sub_f32_e32 v24, v23, v24
	v_ldexp_f32 v17, v17, 1
	v_sub_f32_e32 v22, v22, v24
	v_add_f32_e32 v17, v17, v22
	v_add_f32_e32 v22, v23, v17
	v_sub_f32_e32 v23, v22, v23
	v_sub_f32_e32 v17, v17, v23
	v_add_f32_e32 v23, v18, v22
	v_sub_f32_e32 v24, v23, v18
	v_sub_f32_e32 v31, v23, v24
	v_sub_f32_e32 v21, v57, v21
	v_sub_f32_e32 v18, v18, v31
	v_sub_f32_e32 v22, v22, v24
	v_add_f32_e32 v18, v22, v18
	v_add_f32_e32 v22, v21, v17
	v_sub_f32_e32 v24, v22, v21
	v_sub_f32_e32 v31, v22, v24
	v_sub_f32_e32 v21, v21, v31
	v_sub_f32_e32 v17, v17, v24
	v_add_f32_e32 v18, v22, v18
	v_add_f32_e32 v17, v17, v21
	;; [unrolled: 1-line block ×3, first 2 shown]
	v_sub_f32_e32 v22, v21, v23
	v_sub_f32_e32 v18, v18, v22
	v_add_f32_e32 v17, v17, v18
	v_add_f32_e32 v17, v21, v17
	v_cmp_neq_f32_e64 s[0:1], s3, v20
	v_cndmask_b32_e64 v17, v19, v17, s[0:1]
	s_mov_b32 s0, 0x33800000
	v_cmp_gt_f32_e64 s[0:1], s0, v20
	v_cndmask_b32_e64 v57, v17, v20, s[0:1]
.LBB8_24:
	s_or_b64 exec, exec, s[4:5]
	v_add_co_u32_e64 v17, s[0:1], s30, v25
	v_mov_b32_e32 v18, s31
	v_addc_co_u32_e64 v18, s[0:1], v26, v18, s[0:1]
	global_load_dword v17, v[17:18], off
	s_mov_b32 s3, 0x3fb8aa3b
	s_mov_b32 s4, 0xc2ce8ed0
	;; [unrolled: 1-line block ×3, first 2 shown]
	v_mov_b32_e32 v59, 0x7f800000
	v_mov_b32_e32 v60, 0
	s_waitcnt vmcnt(0)
	v_mul_f32_e32 v58, v57, v17
	v_mul_f32_e32 v17, v57, v13
	;; [unrolled: 1-line block ×3, first 2 shown]
	v_fma_f32 v19, v17, s3, -v18
	v_rndne_f32_e32 v20, v18
	v_fmac_f32_e32 v19, 0x32a5705f, v17
	v_sub_f32_e32 v18, v18, v20
	v_add_f32_e32 v18, v18, v19
	v_exp_f32_e32 v18, v18
	v_cvt_i32_f32_e32 v19, v20
	v_cmp_ngt_f32_e64 s[0:1], s4, v17
	v_ldexp_f32 v18, v18, v19
	v_cndmask_b32_e64 v18, 0, v18, s[0:1]
	v_cmp_nlt_f32_e64 s[0:1], s5, v17
	v_cndmask_b32_e64 v26, v59, v18, s[0:1]
	ds_read_b128 v[61:64], v60
	ds_read_b128 v[65:68], v60 offset:16
	ds_read_b128 v[21:24], v60 offset:32
	ds_read_b128 v[17:20], v60 offset:48
	ds_read_b128 v[69:72], v60 offset:64
	s_waitcnt lgkmcnt(4)
	v_mul_f32_e32 v25, v58, v61
	v_fmac_f32_e32 v25, v56, v26
	v_mul_f32_e32 v26, v57, v14
	v_mul_f32_e32 v31, 0x3fb8aa3b, v26
	s_waitcnt lgkmcnt(0)
	v_fma_f32 v56, v69, v25, 0
	v_fma_f32 v61, v26, s3, -v31
	v_rndne_f32_e32 v69, v31
	v_fmac_f32_e32 v61, 0x32a5705f, v26
	v_sub_f32_e32 v31, v31, v69
	v_add_f32_e32 v31, v31, v61
	v_exp_f32_e32 v31, v31
	v_cvt_i32_f32_e32 v61, v69
	v_cmp_ngt_f32_e64 s[0:1], s4, v26
	v_mul_f32_e32 v17, v58, v17
	v_mul_f32_e32 v18, v58, v18
	v_ldexp_f32 v31, v31, v61
	v_cndmask_b32_e64 v31, 0, v31, s[0:1]
	v_cmp_nlt_f32_e64 s[0:1], s5, v26
	v_cndmask_b32_e64 v31, v59, v31, s[0:1]
	v_mul_f32_e32 v26, v58, v62
	v_fmac_f32_e32 v26, v32, v31
	v_mul_f32_e32 v31, v57, v15
	v_mul_f32_e32 v32, 0x3fb8aa3b, v31
	v_fma_f32 v61, v31, s3, -v32
	v_rndne_f32_e32 v62, v32
	v_fmac_f32_e32 v61, 0x32a5705f, v31
	v_sub_f32_e32 v32, v32, v62
	v_add_f32_e32 v32, v32, v61
	v_exp_f32_e32 v32, v32
	v_cvt_i32_f32_e32 v61, v62
	v_cmp_ngt_f32_e64 s[0:1], s4, v31
	v_fmac_f32_e32 v56, v70, v26
	v_mul_f32_e32 v19, v58, v19
	v_ldexp_f32 v32, v32, v61
	v_cndmask_b32_e64 v32, 0, v32, s[0:1]
	v_cmp_nlt_f32_e64 s[0:1], s5, v31
	v_cndmask_b32_e64 v32, v59, v32, s[0:1]
	v_mul_f32_e32 v31, v58, v63
	v_fmac_f32_e32 v31, v42, v32
	v_mul_f32_e32 v32, v57, v16
	v_mul_f32_e32 v42, 0x3fb8aa3b, v32
	v_fma_f32 v61, v32, s3, -v42
	v_rndne_f32_e32 v62, v42
	v_fmac_f32_e32 v61, 0x32a5705f, v32
	v_sub_f32_e32 v42, v42, v62
	v_add_f32_e32 v42, v42, v61
	v_exp_f32_e32 v42, v42
	v_cvt_i32_f32_e32 v61, v62
	v_cmp_ngt_f32_e64 s[0:1], s4, v32
	v_fmac_f32_e32 v56, v71, v31
	;; [unrolled: 18-line block ×3, first 2 shown]
	v_ldexp_f32 v43, v43, v61
	ds_read_b128 v[61:64], v60 offset:80
	v_cndmask_b32_e64 v43, 0, v43, s[0:1]
	v_cmp_nlt_f32_e64 s[0:1], s5, v42
	v_cndmask_b32_e64 v43, v59, v43, s[0:1]
	v_mul_f32_e32 v42, v58, v65
	v_fmac_f32_e32 v42, v44, v43
	v_mul_f32_e32 v43, v57, v10
	v_mul_f32_e32 v44, 0x3fb8aa3b, v43
	s_waitcnt lgkmcnt(0)
	v_fmac_f32_e32 v56, v61, v42
	v_fma_f32 v61, v43, s3, -v44
	v_rndne_f32_e32 v65, v44
	v_fmac_f32_e32 v61, 0x32a5705f, v43
	v_sub_f32_e32 v44, v44, v65
	v_add_f32_e32 v44, v44, v61
	v_exp_f32_e32 v44, v44
	v_cvt_i32_f32_e32 v61, v65
	v_cmp_ngt_f32_e64 s[0:1], s4, v43
	v_ldexp_f32 v44, v44, v61
	v_cndmask_b32_e64 v44, 0, v44, s[0:1]
	v_cmp_nlt_f32_e64 s[0:1], s5, v43
	v_cndmask_b32_e64 v44, v59, v44, s[0:1]
	v_mul_f32_e32 v43, v58, v66
	v_fmac_f32_e32 v43, v45, v44
	v_mul_f32_e32 v44, v57, v11
	v_mul_f32_e32 v45, 0x3fb8aa3b, v44
	v_fmac_f32_e32 v56, v62, v43
	v_fma_f32 v61, v44, s3, -v45
	v_rndne_f32_e32 v62, v45
	v_fmac_f32_e32 v61, 0x32a5705f, v44
	v_sub_f32_e32 v45, v45, v62
	v_add_f32_e32 v45, v45, v61
	v_exp_f32_e32 v45, v45
	v_cvt_i32_f32_e32 v61, v62
	v_cmp_ngt_f32_e64 s[0:1], s4, v44
	v_ldexp_f32 v45, v45, v61
	v_cndmask_b32_e64 v45, 0, v45, s[0:1]
	v_cmp_nlt_f32_e64 s[0:1], s5, v44
	v_cndmask_b32_e64 v45, v59, v45, s[0:1]
	v_mul_f32_e32 v44, v58, v67
	v_fmac_f32_e32 v44, v46, v45
	v_mul_f32_e32 v45, v57, v12
	v_mul_f32_e32 v46, 0x3fb8aa3b, v45
	v_fma_f32 v61, v45, s3, -v46
	v_rndne_f32_e32 v62, v46
	v_fmac_f32_e32 v61, 0x32a5705f, v45
	v_sub_f32_e32 v46, v46, v62
	v_add_f32_e32 v46, v46, v61
	v_exp_f32_e32 v46, v46
	v_cvt_i32_f32_e32 v61, v62
	v_cmp_ngt_f32_e64 s[0:1], s4, v45
	v_fmac_f32_e32 v56, v63, v44
	v_ldexp_f32 v46, v46, v61
	v_cndmask_b32_e64 v46, 0, v46, s[0:1]
	v_cmp_nlt_f32_e64 s[0:1], s5, v45
	v_cndmask_b32_e64 v46, v59, v46, s[0:1]
	v_mul_f32_e32 v45, v58, v68
	v_fmac_f32_e32 v45, v47, v46
	v_mul_f32_e32 v46, v57, v5
	v_mul_f32_e32 v47, 0x3fb8aa3b, v46
	v_fma_f32 v61, v46, s3, -v47
	v_rndne_f32_e32 v62, v47
	v_fmac_f32_e32 v61, 0x32a5705f, v46
	v_sub_f32_e32 v47, v47, v62
	v_add_f32_e32 v47, v47, v61
	v_exp_f32_e32 v47, v47
	v_cvt_i32_f32_e32 v61, v62
	v_fmac_f32_e32 v56, v64, v45
	v_cmp_ngt_f32_e64 s[0:1], s4, v46
	v_ldexp_f32 v47, v47, v61
	ds_read_b128 v[61:64], v60 offset:96
	v_cndmask_b32_e64 v47, 0, v47, s[0:1]
	v_cmp_nlt_f32_e64 s[0:1], s5, v46
	v_cndmask_b32_e64 v47, v59, v47, s[0:1]
	v_mul_f32_e32 v46, v58, v21
	v_mul_f32_e32 v21, v57, v6
	v_fmac_f32_e32 v46, v48, v47
	v_mul_f32_e32 v47, 0x3fb8aa3b, v21
	s_waitcnt lgkmcnt(0)
	v_fmac_f32_e32 v56, v61, v46
	v_fma_f32 v48, v21, s3, -v47
	v_rndne_f32_e32 v61, v47
	v_fmac_f32_e32 v48, 0x32a5705f, v21
	v_sub_f32_e32 v47, v47, v61
	v_add_f32_e32 v47, v47, v48
	v_exp_f32_e32 v47, v47
	v_cvt_i32_f32_e32 v48, v61
	v_cmp_ngt_f32_e64 s[0:1], s4, v21
	v_ldexp_f32 v47, v47, v48
	v_cndmask_b32_e64 v47, 0, v47, s[0:1]
	v_cmp_nlt_f32_e64 s[0:1], s5, v21
	v_cndmask_b32_e64 v47, v59, v47, s[0:1]
	v_mul_f32_e32 v21, v58, v22
	v_mul_f32_e32 v22, v57, v7
	v_fmac_f32_e32 v21, v49, v47
	v_mul_f32_e32 v47, 0x3fb8aa3b, v22
	v_fma_f32 v48, v22, s3, -v47
	v_rndne_f32_e32 v49, v47
	v_fmac_f32_e32 v48, 0x32a5705f, v22
	v_sub_f32_e32 v47, v47, v49
	v_add_f32_e32 v47, v47, v48
	v_exp_f32_e32 v47, v47
	v_cvt_i32_f32_e32 v48, v49
	v_cmp_ngt_f32_e64 s[0:1], s4, v22
	v_fmac_f32_e32 v56, v62, v21
	v_ldexp_f32 v47, v47, v48
	v_cndmask_b32_e64 v47, 0, v47, s[0:1]
	v_cmp_nlt_f32_e64 s[0:1], s5, v22
	v_cndmask_b32_e64 v47, v59, v47, s[0:1]
	v_mul_f32_e32 v22, v58, v23
	v_mul_f32_e32 v23, v57, v8
	v_fmac_f32_e32 v22, v50, v47
	v_mul_f32_e32 v47, 0x3fb8aa3b, v23
	v_fma_f32 v48, v23, s3, -v47
	v_rndne_f32_e32 v49, v47
	v_fmac_f32_e32 v48, 0x32a5705f, v23
	v_sub_f32_e32 v47, v47, v49
	v_add_f32_e32 v47, v47, v48
	v_exp_f32_e32 v47, v47
	v_cvt_i32_f32_e32 v48, v49
	v_cmp_ngt_f32_e64 s[0:1], s4, v23
	v_fmac_f32_e32 v56, v63, v22
	;; [unrolled: 17-line block ×3, first 2 shown]
	v_ldexp_f32 v47, v47, v48
	v_cndmask_b32_e64 v47, 0, v47, s[0:1]
	v_cmp_nlt_f32_e64 s[0:1], s5, v24
	v_cndmask_b32_e64 v24, v59, v47, s[0:1]
	ds_read_b128 v[47:50], v60 offset:112
	v_fmac_f32_e32 v17, v52, v24
	v_mul_f32_e32 v24, v57, v2
	v_cmp_ngt_f32_e64 s[0:1], s4, v24
	s_waitcnt lgkmcnt(0)
	v_fmac_f32_e32 v56, v47, v17
	v_mul_f32_e32 v47, 0x3fb8aa3b, v24
	v_fma_f32 v51, v24, s3, -v47
	v_rndne_f32_e32 v52, v47
	v_fmac_f32_e32 v51, 0x32a5705f, v24
	v_sub_f32_e32 v47, v47, v52
	v_add_f32_e32 v47, v47, v51
	v_exp_f32_e32 v47, v47
	v_cvt_i32_f32_e32 v51, v52
	v_ldexp_f32 v47, v47, v51
	v_cndmask_b32_e64 v47, 0, v47, s[0:1]
	v_cmp_nlt_f32_e64 s[0:1], s5, v24
	v_cndmask_b32_e64 v24, v59, v47, s[0:1]
	v_fmac_f32_e32 v18, v53, v24
	v_mul_f32_e32 v24, v57, v3
	v_mul_f32_e32 v47, 0x3fb8aa3b, v24
	v_fmac_f32_e32 v56, v48, v18
	v_fma_f32 v48, v24, s3, -v47
	v_rndne_f32_e32 v51, v47
	v_fmac_f32_e32 v48, 0x32a5705f, v24
	v_sub_f32_e32 v47, v47, v51
	v_add_f32_e32 v47, v47, v48
	v_exp_f32_e32 v47, v47
	v_cvt_i32_f32_e32 v48, v51
	v_cmp_ngt_f32_e64 s[0:1], s4, v24
	v_ldexp_f32 v47, v47, v48
	v_cndmask_b32_e64 v47, 0, v47, s[0:1]
	v_cmp_nlt_f32_e64 s[0:1], s5, v24
	v_cndmask_b32_e64 v24, v59, v47, s[0:1]
	v_fmac_f32_e32 v19, v54, v24
	v_mul_f32_e32 v24, v57, v4
	v_mul_f32_e32 v47, 0x3fb8aa3b, v24
	v_fmac_f32_e32 v56, v49, v19
	v_fma_f32 v48, v24, s3, -v47
	v_rndne_f32_e32 v49, v47
	v_fmac_f32_e32 v48, 0x32a5705f, v24
	v_sub_f32_e32 v47, v47, v49
	v_add_f32_e32 v47, v47, v48
	v_exp_f32_e32 v47, v47
	v_cvt_i32_f32_e32 v48, v49
	v_cmp_ngt_f32_e64 s[0:1], s4, v24
	v_ldexp_f32 v47, v47, v48
	v_cndmask_b32_e64 v47, 0, v47, s[0:1]
	v_cmp_nlt_f32_e64 s[0:1], s5, v24
	v_cndmask_b32_e64 v24, v59, v47, s[0:1]
	v_mad_i64_i32 v[47:48], s[0:1], s2, 20, v[29:30]
	v_fmac_f32_e32 v20, v55, v24
	v_fmac_f32_e32 v56, v50, v20
	global_store_dword v[47:48], v56, off
	s_waitcnt vmcnt(0)
	s_barrier
	s_and_saveexec_b64 s[0:1], vcc
	s_cbranch_execz .LBB8_26
; %bb.25:
	v_mad_i64_i32 v[35:36], s[4:5], s18, 24, v[35:36]
	v_mad_i64_i32 v[37:38], s[4:5], s20, 24, v[37:38]
	global_load_dword v24, v[35:36], off
	global_load_dword v47, v[37:38], off
	s_waitcnt vmcnt(1)
	ds_write_b32 v0, v24
	s_waitcnt vmcnt(0)
	ds_write_b32 v41, v47
.LBB8_26:
	s_or_b64 exec, exec, s[0:1]
	v_mov_b32_e32 v0, s29
	v_add_co_u32_e32 v27, vcc, s28, v27
	v_addc_co_u32_e32 v28, vcc, v28, v0, vcc
	s_waitcnt lgkmcnt(0)
	s_barrier
	global_load_dword v0, v[27:28], off
	s_mov_b32 s0, 0x41a00000
	s_waitcnt vmcnt(0)
	v_cmp_ge_f32_e32 vcc, s0, v0
	s_and_saveexec_b64 s[0:1], vcc
	s_cbranch_execz .LBB8_28
; %bb.27:
	v_mul_f32_e32 v24, 0x3fb8aa3b, v0
	v_rndne_f32_e32 v27, v24
	v_sub_f32_e32 v28, v24, v27
	v_fma_f32 v24, v0, s3, -v24
	v_fmac_f32_e32 v24, 0x32a5705f, v0
	v_add_f32_e32 v24, v28, v24
	v_exp_f32_e32 v24, v24
	v_cvt_i32_f32_e32 v27, v27
	s_mov_b32 s3, 0xc2ce8ed0
	v_cmp_ngt_f32_e32 vcc, s3, v0
	s_mov_b32 s3, 0x42b17218
	v_ldexp_f32 v24, v24, v27
	v_cndmask_b32_e32 v24, 0, v24, vcc
	v_mov_b32_e32 v35, 0x7f800000
	v_cmp_nlt_f32_e32 vcc, s3, v0
	v_cndmask_b32_e32 v0, v35, v24, vcc
	v_add_f32_e32 v24, 1.0, v0
	v_cvt_f64_f32_e32 v[27:28], v24
	v_add_f32_e32 v36, -1.0, v24
	v_sub_f32_e32 v37, v36, v24
	v_sub_f32_e32 v36, v0, v36
	v_frexp_exp_i32_f64_e32 v27, v[27:28]
	v_add_f32_e32 v28, 1.0, v37
	v_add_f32_e32 v28, v36, v28
	v_frexp_mant_f32_e32 v36, v24
	s_mov_b32 s4, 0x3f2aaaab
	v_cmp_gt_f32_e32 vcc, s4, v36
	s_mov_b32 s4, 0x3f317218
	s_mov_b32 s3, 0x7f800000
	v_subbrev_co_u32_e32 v27, vcc, 0, v27, vcc
	v_sub_u32_e32 v36, 0, v27
	v_ldexp_f32 v24, v24, v36
	v_ldexp_f32 v28, v28, v36
	v_add_f32_e32 v36, -1.0, v24
	v_add_f32_e32 v41, 1.0, v24
	v_add_f32_e32 v37, 1.0, v36
	v_add_f32_e32 v47, -1.0, v41
	v_sub_f32_e32 v37, v24, v37
	v_sub_f32_e32 v24, v24, v47
	v_add_f32_e32 v24, v28, v24
	v_add_f32_e32 v37, v28, v37
	;; [unrolled: 1-line block ×3, first 2 shown]
	v_rcp_f32_e32 v47, v28
	v_add_f32_e32 v38, v36, v37
	v_sub_f32_e32 v36, v36, v38
	v_add_f32_e32 v36, v37, v36
	v_sub_f32_e32 v37, v41, v28
	v_add_f32_e32 v24, v24, v37
	v_mul_f32_e32 v37, v38, v47
	v_mul_f32_e32 v41, v28, v37
	v_fma_f32 v48, v37, v28, -v41
	v_fmac_f32_e32 v48, v37, v24
	v_add_f32_e32 v49, v41, v48
	v_sub_f32_e32 v50, v38, v49
	v_sub_f32_e32 v38, v38, v50
	;; [unrolled: 1-line block ×4, first 2 shown]
	v_add_f32_e32 v36, v36, v38
	v_sub_f32_e32 v38, v41, v48
	v_add_f32_e32 v36, v38, v36
	v_add_f32_e32 v38, v50, v36
	v_mul_f32_e32 v41, v47, v38
	v_mul_f32_e32 v48, v28, v41
	v_fma_f32 v28, v41, v28, -v48
	v_fmac_f32_e32 v28, v41, v24
	v_sub_f32_e32 v24, v50, v38
	v_add_f32_e32 v24, v36, v24
	v_add_f32_e32 v36, v48, v28
	v_sub_f32_e32 v49, v38, v36
	v_sub_f32_e32 v38, v38, v49
	;; [unrolled: 1-line block ×4, first 2 shown]
	v_add_f32_e32 v24, v24, v36
	v_sub_f32_e32 v28, v48, v28
	v_add_f32_e32 v24, v28, v24
	v_add_f32_e32 v28, v37, v41
	;; [unrolled: 1-line block ×3, first 2 shown]
	v_sub_f32_e32 v36, v28, v37
	v_mul_f32_e32 v24, v47, v24
	v_sub_f32_e32 v36, v41, v36
	v_add_f32_e32 v24, v36, v24
	v_cvt_f32_i32_e32 v27, v27
	v_add_f32_e32 v36, v28, v24
	v_mul_f32_e32 v37, v36, v36
	v_mov_b32_e32 v38, 0x3ecc95a3
	v_fmac_f32_e32 v38, 0x3e9b6dac, v37
	v_mov_b32_e32 v41, 0x3f2aaada
	v_fmac_f32_e32 v41, v37, v38
	v_mul_f32_e32 v38, 0x3f317218, v27
	v_fma_f32 v47, v27, s4, -v38
	v_fmac_f32_e32 v47, 0xb102e308, v27
	v_sub_f32_e32 v27, v36, v28
	v_sub_f32_e32 v24, v24, v27
	v_add_f32_e32 v27, v38, v47
	v_sub_f32_e32 v28, v27, v38
	v_ldexp_f32 v38, v36, 1
	v_mul_f32_e32 v36, v36, v37
	v_mul_f32_e32 v36, v36, v41
	v_add_f32_e32 v37, v38, v36
	v_sub_f32_e32 v38, v37, v38
	v_ldexp_f32 v24, v24, 1
	v_sub_f32_e32 v36, v36, v38
	v_add_f32_e32 v24, v24, v36
	v_add_f32_e32 v36, v37, v24
	v_sub_f32_e32 v37, v36, v37
	v_sub_f32_e32 v24, v24, v37
	v_add_f32_e32 v37, v27, v36
	v_sub_f32_e32 v38, v37, v27
	v_sub_f32_e32 v41, v37, v38
	;; [unrolled: 1-line block ×5, first 2 shown]
	v_add_f32_e32 v27, v36, v27
	v_add_f32_e32 v36, v28, v24
	v_sub_f32_e32 v38, v36, v28
	v_sub_f32_e32 v41, v36, v38
	;; [unrolled: 1-line block ×4, first 2 shown]
	v_add_f32_e32 v27, v36, v27
	v_add_f32_e32 v24, v24, v28
	;; [unrolled: 1-line block ×3, first 2 shown]
	v_sub_f32_e32 v36, v28, v37
	v_sub_f32_e32 v27, v27, v36
	v_add_f32_e32 v24, v24, v27
	v_add_f32_e32 v24, v28, v24
	v_cmp_neq_f32_e32 vcc, s3, v0
	s_mov_b32 s3, 0x33800000
	v_cndmask_b32_e32 v24, v35, v24, vcc
	v_cmp_gt_f32_e32 vcc, s3, v0
	v_cndmask_b32_e32 v0, v24, v0, vcc
.LBB8_28:
	s_or_b64 exec, exec, s[0:1]
	v_mad_i64_i32 v[27:28], s[0:1], s26, 24, v[39:40]
	s_mov_b32 s1, 0x3fb8aa3b
	v_mul_f32_e32 v40, v0, v14
	global_load_dword v24, v[27:28], off
	v_mul_f32_e32 v27, v0, v13
	v_mul_f32_e32 v64, 0x3fb8aa3b, v27
	;; [unrolled: 1-line block ×4, first 2 shown]
	v_fma_f32 v69, v27, s1, -v64
	v_rndne_f32_e32 v70, v64
	v_mul_f32_e32 v63, v0, v16
	v_mul_f32_e32 v66, 0x3fb8aa3b, v41
	v_fma_f32 v71, v40, s1, -v65
	v_rndne_f32_e32 v72, v65
	v_fmac_f32_e32 v69, 0x32a5705f, v27
	v_sub_f32_e32 v64, v64, v70
	v_mul_f32_e32 v67, 0x3fb8aa3b, v63
	v_fma_f32 v73, v41, s1, -v66
	v_rndne_f32_e32 v74, v66
	v_fmac_f32_e32 v71, 0x32a5705f, v40
	v_sub_f32_e32 v65, v65, v72
	v_add_f32_e32 v64, v64, v69
	v_fma_f32 v75, v63, s1, -v67
	v_rndne_f32_e32 v76, v67
	v_cvt_i32_f32_e32 v70, v70
	v_fmac_f32_e32 v73, 0x32a5705f, v41
	v_sub_f32_e32 v66, v66, v74
	v_add_f32_e32 v65, v65, v71
	v_exp_f32_e32 v64, v64
	v_cvt_i32_f32_e32 v72, v72
	v_fmac_f32_e32 v75, 0x32a5705f, v63
	v_sub_f32_e32 v67, v67, v76
	v_add_f32_e32 v66, v66, v73
	v_exp_f32_e32 v65, v65
	v_cvt_i32_f32_e32 v74, v74
	v_add_f32_e32 v67, v67, v75
	v_exp_f32_e32 v66, v66
	s_mov_b32 s0, 0xc2ce8ed0
	v_cvt_i32_f32_e32 v76, v76
	v_exp_f32_e32 v67, v67
	v_ldexp_f32 v64, v64, v70
	v_cmp_ngt_f32_e32 vcc, s0, v27
	v_ldexp_f32 v65, v65, v72
	v_cndmask_b32_e32 v64, 0, v64, vcc
	v_cmp_ngt_f32_e32 vcc, s0, v40
	v_mul_f32_e32 v9, v0, v9
	v_ldexp_f32 v66, v66, v74
	v_cndmask_b32_e32 v65, 0, v65, vcc
	v_cmp_ngt_f32_e32 vcc, s0, v41
	s_mov_b32 s3, 0x42b17218
	v_mov_b32_e32 v39, 0
	v_mul_f32_e32 v68, 0x3fb8aa3b, v9
	v_ldexp_f32 v67, v67, v76
	v_cndmask_b32_e32 v66, 0, v66, vcc
	v_cmp_ngt_f32_e32 vcc, s0, v63
	v_mov_b32_e32 v28, 0x7f800000
	ds_read_b128 v[13:16], v39
	ds_read_b128 v[35:38], v39 offset:16
	ds_read_b128 v[47:50], v39 offset:32
	;; [unrolled: 1-line block ×3, first 2 shown]
	v_fma_f32 v77, v9, s1, -v68
	v_rndne_f32_e32 v78, v68
	v_cndmask_b32_e32 v67, 0, v67, vcc
	v_cmp_nlt_f32_e32 vcc, s3, v27
	v_fmac_f32_e32 v77, 0x32a5705f, v9
	v_cndmask_b32_e32 v27, v28, v64, vcc
	v_cmp_nlt_f32_e32 vcc, s3, v40
	v_cndmask_b32_e32 v40, v28, v65, vcc
	v_cmp_nlt_f32_e32 vcc, s3, v41
	;; [unrolled: 2-line block ×3, first 2 shown]
	v_cndmask_b32_e32 v63, v28, v67, vcc
	v_cmp_ngt_f32_e32 vcc, s0, v9
	v_mul_f32_e32 v10, v0, v10
	v_mul_f32_e32 v11, v0, v11
	;; [unrolled: 1-line block ×4, first 2 shown]
	ds_read_b128 v[55:58], v39 offset:64
	ds_read_b128 v[59:62], v39 offset:80
	v_mul_f32_e32 v6, v0, v6
	v_mul_f32_e32 v7, v0, v7
	v_mul_f32_e32 v8, v0, v8
	v_mul_f32_e32 v1, v0, v1
	v_mul_f32_e32 v2, v0, v2
	v_mul_f32_e32 v3, v0, v3
	s_add_u32 s4, s22, s36
	s_mul_i32 s5, s25, s6
	s_waitcnt vmcnt(0)
	v_mul_f32_e32 v64, v0, v24
	v_sub_f32_e32 v24, v68, v78
	s_waitcnt lgkmcnt(5)
	v_mul_f32_e32 v13, v64, v13
	v_add_f32_e32 v24, v24, v77
	v_fmac_f32_e32 v13, v25, v27
	v_exp_f32_e32 v24, v24
	v_cvt_i32_f32_e32 v25, v78
	v_mul_f32_e32 v14, v64, v14
	v_fmac_f32_e32 v14, v26, v40
	v_mul_f32_e32 v15, v64, v15
	v_ldexp_f32 v24, v24, v25
	v_cndmask_b32_e32 v24, 0, v24, vcc
	v_cmp_nlt_f32_e32 vcc, s3, v9
	v_mul_f32_e32 v9, 0x3fb8aa3b, v10
	v_fma_f32 v25, v10, s1, -v9
	v_rndne_f32_e32 v26, v9
	v_fmac_f32_e32 v25, 0x32a5705f, v10
	v_sub_f32_e32 v9, v9, v26
	v_add_f32_e32 v9, v9, v25
	v_exp_f32_e32 v25, v9
	v_cvt_i32_f32_e32 v26, v26
	v_cndmask_b32_e32 v24, v28, v24, vcc
	s_waitcnt lgkmcnt(4)
	v_mul_f32_e32 v9, v64, v35
	v_fmac_f32_e32 v9, v42, v24
	v_ldexp_f32 v24, v25, v26
	v_cmp_ngt_f32_e32 vcc, s0, v10
	v_cndmask_b32_e32 v24, 0, v24, vcc
	v_cmp_nlt_f32_e32 vcc, s3, v10
	v_mul_f32_e32 v10, 0x3fb8aa3b, v11
	v_fma_f32 v25, v11, s1, -v10
	v_rndne_f32_e32 v26, v10
	v_fmac_f32_e32 v25, 0x32a5705f, v11
	v_sub_f32_e32 v10, v10, v26
	v_add_f32_e32 v10, v10, v25
	v_exp_f32_e32 v25, v10
	v_cvt_i32_f32_e32 v26, v26
	v_cndmask_b32_e32 v24, v28, v24, vcc
	v_mul_f32_e32 v10, v64, v36
	v_fmac_f32_e32 v10, v43, v24
	v_ldexp_f32 v24, v25, v26
	v_cmp_ngt_f32_e32 vcc, s0, v11
	v_cndmask_b32_e32 v24, 0, v24, vcc
	v_cmp_nlt_f32_e32 vcc, s3, v11
	v_mul_f32_e32 v11, 0x3fb8aa3b, v12
	v_fma_f32 v25, v12, s1, -v11
	v_rndne_f32_e32 v26, v11
	v_fmac_f32_e32 v25, 0x32a5705f, v12
	v_sub_f32_e32 v11, v11, v26
	v_add_f32_e32 v11, v11, v25
	v_exp_f32_e32 v25, v11
	v_cvt_i32_f32_e32 v26, v26
	v_cndmask_b32_e32 v24, v28, v24, vcc
	v_mul_f32_e32 v11, v64, v37
	v_fmac_f32_e32 v11, v44, v24
	v_ldexp_f32 v24, v25, v26
	v_cmp_ngt_f32_e32 vcc, s0, v12
	v_cndmask_b32_e32 v24, 0, v24, vcc
	v_cmp_nlt_f32_e32 vcc, s3, v12
	v_mul_f32_e32 v12, 0x3fb8aa3b, v5
	v_fma_f32 v25, v5, s1, -v12
	v_rndne_f32_e32 v26, v12
	v_fmac_f32_e32 v25, 0x32a5705f, v5
	v_sub_f32_e32 v12, v12, v26
	v_add_f32_e32 v12, v12, v25
	v_exp_f32_e32 v25, v12
	v_cvt_i32_f32_e32 v26, v26
	v_fmac_f32_e32 v15, v31, v41
	s_waitcnt lgkmcnt(1)
	v_fma_f32 v31, v55, v13, 0
	v_cndmask_b32_e32 v24, v28, v24, vcc
	v_mul_f32_e32 v12, v64, v38
	v_mul_f32_e32 v35, 0x3fb8aa3b, v6
	v_fmac_f32_e32 v31, v56, v14
	v_mul_f32_e32 v16, v64, v16
	v_fmac_f32_e32 v12, v45, v24
	v_ldexp_f32 v24, v25, v26
	v_cmp_ngt_f32_e32 vcc, s0, v5
	v_fma_f32 v36, v6, s1, -v35
	v_rndne_f32_e32 v37, v35
	v_fmac_f32_e32 v31, v57, v15
	v_fmac_f32_e32 v16, v32, v63
	v_cndmask_b32_e32 v24, 0, v24, vcc
	v_cmp_nlt_f32_e32 vcc, s3, v5
	v_fmac_f32_e32 v36, 0x32a5705f, v6
	v_sub_f32_e32 v35, v35, v37
	v_fmac_f32_e32 v31, v58, v16
	v_cndmask_b32_e32 v32, v28, v24, vcc
	ds_read_b128 v[24:27], v39 offset:96
	v_add_f32_e32 v35, v35, v36
	s_waitcnt lgkmcnt(1)
	v_fmac_f32_e32 v31, v59, v9
	v_exp_f32_e32 v40, v35
	v_cvt_i32_f32_e32 v41, v37
	v_fmac_f32_e32 v31, v60, v10
	v_fmac_f32_e32 v31, v61, v11
	v_mul_f32_e32 v5, v64, v47
	v_fmac_f32_e32 v31, v62, v12
	v_fmac_f32_e32 v5, v46, v32
	ds_read_b128 v[35:38], v39 offset:112
	s_waitcnt lgkmcnt(1)
	v_fmac_f32_e32 v31, v24, v5
	v_ldexp_f32 v24, v40, v41
	v_cmp_ngt_f32_e32 vcc, s0, v6
	v_cndmask_b32_e32 v24, 0, v24, vcc
	v_cmp_nlt_f32_e32 vcc, s3, v6
	v_mul_f32_e32 v6, 0x3fb8aa3b, v7
	v_fma_f32 v32, v7, s1, -v6
	v_rndne_f32_e32 v39, v6
	v_fmac_f32_e32 v32, 0x32a5705f, v7
	v_sub_f32_e32 v6, v6, v39
	v_add_f32_e32 v6, v6, v32
	v_exp_f32_e32 v32, v6
	v_cvt_i32_f32_e32 v39, v39
	v_cndmask_b32_e32 v24, v28, v24, vcc
	v_mul_f32_e32 v6, v64, v48
	v_fmac_f32_e32 v6, v21, v24
	v_ldexp_f32 v21, v32, v39
	v_cmp_ngt_f32_e32 vcc, s0, v7
	v_cndmask_b32_e32 v21, 0, v21, vcc
	v_cmp_nlt_f32_e32 vcc, s3, v7
	v_mul_f32_e32 v7, 0x3fb8aa3b, v8
	v_fmac_f32_e32 v31, v25, v6
	v_fma_f32 v24, v8, s1, -v7
	v_rndne_f32_e32 v25, v7
	v_fmac_f32_e32 v24, 0x32a5705f, v8
	v_sub_f32_e32 v7, v7, v25
	v_add_f32_e32 v7, v7, v24
	v_exp_f32_e32 v24, v7
	v_cvt_i32_f32_e32 v25, v25
	v_cndmask_b32_e32 v21, v28, v21, vcc
	v_mul_f32_e32 v7, v64, v49
	v_fmac_f32_e32 v7, v22, v21
	v_ldexp_f32 v21, v24, v25
	v_cmp_ngt_f32_e32 vcc, s0, v8
	v_cndmask_b32_e32 v21, 0, v21, vcc
	v_cmp_nlt_f32_e32 vcc, s3, v8
	v_mul_f32_e32 v8, 0x3fb8aa3b, v1
	v_fma_f32 v22, v1, s1, -v8
	v_rndne_f32_e32 v24, v8
	v_fmac_f32_e32 v22, 0x32a5705f, v1
	v_sub_f32_e32 v8, v8, v24
	v_add_f32_e32 v8, v8, v22
	v_exp_f32_e32 v22, v8
	v_cvt_i32_f32_e32 v24, v24
	v_cndmask_b32_e32 v21, v28, v21, vcc
	v_mul_f32_e32 v8, v64, v50
	v_fmac_f32_e32 v8, v23, v21
	v_ldexp_f32 v21, v22, v24
	v_cmp_ngt_f32_e32 vcc, s0, v1
	v_cndmask_b32_e32 v21, 0, v21, vcc
	v_cmp_nlt_f32_e32 vcc, s3, v1
	v_mul_f32_e32 v1, 0x3fb8aa3b, v2
	;; [unrolled: 15-line block ×3, first 2 shown]
	v_fma_f32 v21, v3, s1, -v2
	v_rndne_f32_e32 v22, v2
	v_fmac_f32_e32 v21, 0x32a5705f, v3
	v_sub_f32_e32 v2, v2, v22
	v_add_f32_e32 v2, v2, v21
	v_exp_f32_e32 v21, v2
	v_cvt_i32_f32_e32 v22, v22
	v_cndmask_b32_e32 v17, v28, v17, vcc
	v_mul_f32_e32 v2, v64, v52
	v_fmac_f32_e32 v2, v18, v17
	v_ldexp_f32 v17, v21, v22
	v_cmp_ngt_f32_e32 vcc, s0, v3
	v_mul_f32_e32 v0, v0, v4
	v_cndmask_b32_e32 v17, 0, v17, vcc
	v_cmp_nlt_f32_e32 vcc, s3, v3
	v_mul_f32_e32 v3, 0x3fb8aa3b, v0
	v_fma_f32 v4, v0, s1, -v3
	v_rndne_f32_e32 v18, v3
	v_fmac_f32_e32 v4, 0x32a5705f, v0
	v_sub_f32_e32 v3, v3, v18
	v_add_f32_e32 v3, v3, v4
	v_exp_f32_e32 v4, v3
	v_cvt_i32_f32_e32 v18, v18
	v_fmac_f32_e32 v31, v26, v7
	s_addc_u32 s6, s23, s37
	v_fmac_f32_e32 v31, v27, v8
	v_cndmask_b32_e32 v17, v28, v17, vcc
	v_mul_f32_e32 v3, v64, v53
	v_ldexp_f32 v4, v4, v18
	v_cmp_ngt_f32_e32 vcc, s0, v0
	s_add_u32 s4, s4, s5
	s_waitcnt lgkmcnt(0)
	v_fmac_f32_e32 v31, v35, v1
	v_fmac_f32_e32 v3, v19, v17
	v_cndmask_b32_e32 v4, 0, v4, vcc
	v_cmp_nlt_f32_e32 vcc, s3, v0
	v_mad_i64_i32 v[17:18], s[0:1], s2, 24, v[29:30]
	s_addc_u32 s5, s6, 0
	v_fmac_f32_e32 v31, v36, v2
	v_cndmask_b32_e32 v0, v28, v4, vcc
	v_mul_f32_e32 v4, v64, v54
	v_fmac_f32_e32 v31, v37, v3
	v_fmac_f32_e32 v4, v20, v0
	s_add_u32 s0, s4, s34
	v_fmac_f32_e32 v31, v38, v4
	s_addc_u32 s1, s5, s33
	global_store_dword v[17:18], v31, off
	v_mov_b32_e32 v0, s1
	v_add_co_u32_e32 v17, vcc, s0, v33
	v_addc_co_u32_e32 v18, vcc, v0, v34, vcc
	s_waitcnt vmcnt(0)
	s_barrier
	global_store_dwordx4 v[17:18], v[13:16], off
	global_store_dwordx4 v[17:18], v[9:12], off offset:16
	global_store_dwordx4 v[17:18], v[5:8], off offset:32
	;; [unrolled: 1-line block ×3, first 2 shown]
	s_endpgm
	.section	.rodata,"a",@progbits
	.p2align	6, 0x0
	.amdhsa_kernel _Z12ssm_scan_f32ILm128ELm16ELm7EEvPKfS1_S1_S1_S1_S1_PKiPfiiiiiiiiiiilll
		.amdhsa_group_segment_fixed_size 128
		.amdhsa_private_segment_fixed_size 0
		.amdhsa_kernarg_size 136
		.amdhsa_user_sgpr_count 6
		.amdhsa_user_sgpr_private_segment_buffer 1
		.amdhsa_user_sgpr_dispatch_ptr 0
		.amdhsa_user_sgpr_queue_ptr 0
		.amdhsa_user_sgpr_kernarg_segment_ptr 1
		.amdhsa_user_sgpr_dispatch_id 0
		.amdhsa_user_sgpr_flat_scratch_init 0
		.amdhsa_user_sgpr_private_segment_size 0
		.amdhsa_uses_dynamic_stack 0
		.amdhsa_system_sgpr_private_segment_wavefront_offset 0
		.amdhsa_system_sgpr_workgroup_id_x 1
		.amdhsa_system_sgpr_workgroup_id_y 1
		.amdhsa_system_sgpr_workgroup_id_z 0
		.amdhsa_system_sgpr_workgroup_info 0
		.amdhsa_system_vgpr_workitem_id 0
		.amdhsa_next_free_vgpr 79
		.amdhsa_next_free_sgpr 44
		.amdhsa_reserve_vcc 1
		.amdhsa_reserve_flat_scratch 0
		.amdhsa_float_round_mode_32 0
		.amdhsa_float_round_mode_16_64 0
		.amdhsa_float_denorm_mode_32 3
		.amdhsa_float_denorm_mode_16_64 3
		.amdhsa_dx10_clamp 1
		.amdhsa_ieee_mode 1
		.amdhsa_fp16_overflow 0
		.amdhsa_exception_fp_ieee_invalid_op 0
		.amdhsa_exception_fp_denorm_src 0
		.amdhsa_exception_fp_ieee_div_zero 0
		.amdhsa_exception_fp_ieee_overflow 0
		.amdhsa_exception_fp_ieee_underflow 0
		.amdhsa_exception_fp_ieee_inexact 0
		.amdhsa_exception_int_div_zero 0
	.end_amdhsa_kernel
	.section	.text._Z12ssm_scan_f32ILm128ELm16ELm7EEvPKfS1_S1_S1_S1_S1_PKiPfiiiiiiiiiiilll,"axG",@progbits,_Z12ssm_scan_f32ILm128ELm16ELm7EEvPKfS1_S1_S1_S1_S1_PKiPfiiiiiiiiiiilll,comdat
.Lfunc_end8:
	.size	_Z12ssm_scan_f32ILm128ELm16ELm7EEvPKfS1_S1_S1_S1_S1_PKiPfiiiiiiiiiiilll, .Lfunc_end8-_Z12ssm_scan_f32ILm128ELm16ELm7EEvPKfS1_S1_S1_S1_S1_PKiPfiiiiiiiiiiilll
                                        ; -- End function
	.set _Z12ssm_scan_f32ILm128ELm16ELm7EEvPKfS1_S1_S1_S1_S1_PKiPfiiiiiiiiiiilll.num_vgpr, 79
	.set _Z12ssm_scan_f32ILm128ELm16ELm7EEvPKfS1_S1_S1_S1_S1_PKiPfiiiiiiiiiiilll.num_agpr, 0
	.set _Z12ssm_scan_f32ILm128ELm16ELm7EEvPKfS1_S1_S1_S1_S1_PKiPfiiiiiiiiiiilll.numbered_sgpr, 44
	.set _Z12ssm_scan_f32ILm128ELm16ELm7EEvPKfS1_S1_S1_S1_S1_PKiPfiiiiiiiiiiilll.num_named_barrier, 0
	.set _Z12ssm_scan_f32ILm128ELm16ELm7EEvPKfS1_S1_S1_S1_S1_PKiPfiiiiiiiiiiilll.private_seg_size, 0
	.set _Z12ssm_scan_f32ILm128ELm16ELm7EEvPKfS1_S1_S1_S1_S1_PKiPfiiiiiiiiiiilll.uses_vcc, 1
	.set _Z12ssm_scan_f32ILm128ELm16ELm7EEvPKfS1_S1_S1_S1_S1_PKiPfiiiiiiiiiiilll.uses_flat_scratch, 0
	.set _Z12ssm_scan_f32ILm128ELm16ELm7EEvPKfS1_S1_S1_S1_S1_PKiPfiiiiiiiiiiilll.has_dyn_sized_stack, 0
	.set _Z12ssm_scan_f32ILm128ELm16ELm7EEvPKfS1_S1_S1_S1_S1_PKiPfiiiiiiiiiiilll.has_recursion, 0
	.set _Z12ssm_scan_f32ILm128ELm16ELm7EEvPKfS1_S1_S1_S1_S1_PKiPfiiiiiiiiiiilll.has_indirect_call, 0
	.section	.AMDGPU.csdata,"",@progbits
; Kernel info:
; codeLenInByte = 18488
; TotalNumSgprs: 48
; NumVgprs: 79
; ScratchSize: 0
; MemoryBound: 0
; FloatMode: 240
; IeeeMode: 1
; LDSByteSize: 128 bytes/workgroup (compile time only)
; SGPRBlocks: 5
; VGPRBlocks: 19
; NumSGPRsForWavesPerEU: 48
; NumVGPRsForWavesPerEU: 79
; Occupancy: 3
; WaveLimiterHint : 1
; COMPUTE_PGM_RSRC2:SCRATCH_EN: 0
; COMPUTE_PGM_RSRC2:USER_SGPR: 6
; COMPUTE_PGM_RSRC2:TRAP_HANDLER: 0
; COMPUTE_PGM_RSRC2:TGID_X_EN: 1
; COMPUTE_PGM_RSRC2:TGID_Y_EN: 1
; COMPUTE_PGM_RSRC2:TGID_Z_EN: 0
; COMPUTE_PGM_RSRC2:TIDIG_COMP_CNT: 0
	.section	.text._Z12ssm_scan_f32ILm128ELm16ELm8EEvPKfS1_S1_S1_S1_S1_PKiPfiiiiiiiiiiilll,"axG",@progbits,_Z12ssm_scan_f32ILm128ELm16ELm8EEvPKfS1_S1_S1_S1_S1_PKiPfiiiiiiiiiiilll,comdat
	.protected	_Z12ssm_scan_f32ILm128ELm16ELm8EEvPKfS1_S1_S1_S1_S1_PKiPfiiiiiiiiiiilll ; -- Begin function _Z12ssm_scan_f32ILm128ELm16ELm8EEvPKfS1_S1_S1_S1_S1_PKiPfiiiiiiiiiiilll
	.globl	_Z12ssm_scan_f32ILm128ELm16ELm8EEvPKfS1_S1_S1_S1_S1_PKiPfiiiiiiiiiiilll
	.p2align	8
	.type	_Z12ssm_scan_f32ILm128ELm16ELm8EEvPKfS1_S1_S1_S1_S1_PKiPfiiiiiiiiiiilll,@function
_Z12ssm_scan_f32ILm128ELm16ELm8EEvPKfS1_S1_S1_S1_S1_PKiPfiiiiiiiiiiilll: ; @_Z12ssm_scan_f32ILm128ELm16ELm8EEvPKfS1_S1_S1_S1_S1_PKiPfiiiiiiiiiiilll
; %bb.0:
	s_load_dwordx16 s[8:23], s[4:5], 0x0
	s_load_dwordx8 s[24:31], s[4:5], 0x40
	s_mov_b32 s2, s7
	s_mov_b32 s7, 0
	s_lshl_b64 s[0:1], s[6:7], 2
	s_waitcnt lgkmcnt(0)
	s_add_u32 s0, s20, s0
	s_addc_u32 s1, s21, s1
	s_load_dword s0, s[0:1], 0x0
	v_mov_b32_e32 v2, 0
	s_load_dwordx4 s[40:43], s[4:5], 0x60
	s_waitcnt lgkmcnt(0)
	s_mul_i32 s0, s0, s25
	s_ashr_i32 s1, s0, 31
	s_add_u32 s0, s8, s0
	s_addc_u32 s1, s9, s1
	s_lshl_b32 s3, s2, 7
	s_ashr_i32 s8, s24, 31
	s_mul_i32 s8, s3, s8
	s_mul_hi_u32 s9, s3, s24
	s_add_i32 s8, s9, s8
	s_lshr_b32 s9, s2, 25
	s_mul_i32 s20, s9, s24
	s_add_i32 s33, s8, s20
	s_mul_i32 s34, s3, s24
	s_add_u32 s0, s0, s34
	s_addc_u32 s1, s1, s33
	s_ashr_i32 s8, s30, 31
	s_mul_i32 s8, s3, s8
	s_mul_hi_u32 s20, s3, s30
	s_add_i32 s8, s20, s8
	s_mul_i32 s9, s9, s30
	s_add_i32 s8, s8, s9
	s_mul_i32 s3, s3, s30
	s_add_u32 s3, s14, s3
	s_addc_u32 s8, s15, s8
	s_ashr_i32 s9, s30, 2
	v_mul_lo_u32 v1, s9, v0
	s_ashr_i32 s9, s24, 2
	v_mov_b32_e32 v5, s8
	v_lshlrev_b64 v[3:4], 2, v[1:2]
	v_mul_lo_u32 v1, s9, v0
	v_add_co_u32_e32 v35, vcc, s3, v3
	v_addc_co_u32_e32 v36, vcc, v5, v4, vcc
	v_lshlrev_b64 v[33:34], 2, v[1:2]
	v_mov_b32_e32 v1, s1
	v_add_co_u32_e32 v37, vcc, s0, v33
	v_addc_co_u32_e32 v38, vcc, v1, v34, vcc
	global_load_dwordx4 v[1:4], v[35:36], off offset:48
	global_load_dwordx4 v[5:8], v[35:36], off offset:32
	;; [unrolled: 1-line block ×3, first 2 shown]
	global_load_dwordx4 v[13:16], v[35:36], off
	global_load_dwordx4 v[17:20], v[37:38], off offset:48
	global_load_dwordx4 v[21:24], v[37:38], off offset:32
	;; [unrolled: 1-line block ×3, first 2 shown]
	global_load_dwordx4 v[29:32], v[37:38], off
	s_mul_i32 s0, s40, s6
	s_add_u32 s0, s16, s0
	s_mov_b32 s3, s7
	s_mul_i32 s1, s42, s6
	s_addc_u32 s7, s17, 0
	v_cmp_gt_u32_e32 vcc, 16, v0
	v_lshlrev_b32_e32 v0, 2, v0
	s_add_u32 s8, s18, s1
	v_mov_b32_e32 v36, s7
	v_add_co_u32_e64 v35, s[0:1], s0, v0
	s_addc_u32 s9, s19, 0
	v_addc_co_u32_e64 v36, s[0:1], 0, v36, s[0:1]
	v_mov_b32_e32 v38, s9
	v_add_co_u32_e64 v37, s[0:1], s8, v0
	v_addc_co_u32_e64 v38, s[0:1], 0, v38, s[0:1]
	v_add_u32_e32 v41, 64, v0
	s_and_saveexec_b64 s[0:1], vcc
	s_cbranch_execz .LBB9_2
; %bb.1:
	global_load_dword v39, v[35:36], off
	global_load_dword v40, v[37:38], off
	s_waitcnt vmcnt(1)
	ds_write_b32 v0, v39
	s_waitcnt vmcnt(0)
	ds_write_b32 v41, v40
.LBB9_2:
	s_or_b64 exec, exec, s[0:1]
	s_lshl_b64 s[2:3], s[2:3], 9
	s_mul_i32 s0, s29, s6
	s_add_u32 s0, s12, s0
	s_addc_u32 s1, s13, 0
	s_add_u32 s0, s0, s2
	s_addc_u32 s1, s1, s3
	s_waitcnt vmcnt(0) lgkmcnt(0)
	s_barrier
	global_load_dword v45, v0, s[0:1]
	v_mov_b32_e32 v39, s1
	v_add_co_u32_e64 v42, s[0:1], s0, v0
	v_addc_co_u32_e64 v44, s[0:1], 0, v39, s[0:1]
	s_mov_b32 s0, 0x41a00000
	s_waitcnt vmcnt(0)
	v_cmp_ge_f32_e64 s[0:1], s0, v45
	s_and_saveexec_b64 s[8:9], s[0:1]
	s_cbranch_execz .LBB9_4
; %bb.3:
	v_mul_f32_e32 v39, 0x3fb8aa3b, v45
	s_mov_b32 s0, 0x3fb8aa3b
	v_rndne_f32_e32 v40, v39
	v_sub_f32_e32 v43, v39, v40
	v_fma_f32 v39, v45, s0, -v39
	v_fmac_f32_e32 v39, 0x32a5705f, v45
	v_add_f32_e32 v39, v43, v39
	v_exp_f32_e32 v39, v39
	v_cvt_i32_f32_e32 v40, v40
	s_mov_b32 s0, 0xc2ce8ed0
	v_cmp_ngt_f32_e64 s[0:1], s0, v45
	v_mov_b32_e32 v43, 0x7f800000
	v_ldexp_f32 v39, v39, v40
	v_cndmask_b32_e64 v39, 0, v39, s[0:1]
	s_mov_b32 s0, 0x42b17218
	v_cmp_nlt_f32_e64 s[0:1], s0, v45
	v_cndmask_b32_e64 v45, v43, v39, s[0:1]
	v_add_f32_e32 v46, 1.0, v45
	v_cvt_f64_f32_e32 v[39:40], v46
	v_add_f32_e32 v47, -1.0, v46
	v_sub_f32_e32 v48, v47, v46
	v_sub_f32_e32 v47, v45, v47
	v_frexp_exp_i32_f64_e32 v39, v[39:40]
	v_add_f32_e32 v40, 1.0, v48
	v_add_f32_e32 v40, v47, v40
	v_frexp_mant_f32_e32 v47, v46
	s_mov_b32 s0, 0x3f2aaaab
	v_cmp_gt_f32_e64 s[0:1], s0, v47
	s_mov_b32 s7, 0x7f800000
	v_subbrev_co_u32_e64 v39, s[0:1], 0, v39, s[0:1]
	v_sub_u32_e32 v47, 0, v39
	v_ldexp_f32 v46, v46, v47
	v_ldexp_f32 v40, v40, v47
	v_add_f32_e32 v47, -1.0, v46
	v_add_f32_e32 v50, 1.0, v46
	v_add_f32_e32 v48, 1.0, v47
	v_add_f32_e32 v51, -1.0, v50
	v_sub_f32_e32 v48, v46, v48
	v_sub_f32_e32 v46, v46, v51
	v_add_f32_e32 v48, v40, v48
	v_add_f32_e32 v40, v40, v46
	;; [unrolled: 1-line block ×3, first 2 shown]
	v_rcp_f32_e32 v51, v46
	v_add_f32_e32 v49, v47, v48
	v_sub_f32_e32 v47, v47, v49
	v_add_f32_e32 v47, v48, v47
	v_sub_f32_e32 v48, v50, v46
	v_add_f32_e32 v40, v40, v48
	v_mul_f32_e32 v48, v49, v51
	v_mul_f32_e32 v50, v46, v48
	v_fma_f32 v52, v48, v46, -v50
	v_fmac_f32_e32 v52, v48, v40
	v_add_f32_e32 v53, v50, v52
	v_sub_f32_e32 v54, v49, v53
	v_sub_f32_e32 v49, v49, v54
	;; [unrolled: 1-line block ×4, first 2 shown]
	v_add_f32_e32 v47, v47, v49
	v_sub_f32_e32 v49, v50, v52
	v_add_f32_e32 v47, v49, v47
	v_add_f32_e32 v49, v54, v47
	v_mul_f32_e32 v50, v51, v49
	v_mul_f32_e32 v52, v46, v50
	v_fma_f32 v46, v50, v46, -v52
	v_fmac_f32_e32 v46, v50, v40
	v_sub_f32_e32 v40, v54, v49
	v_add_f32_e32 v40, v47, v40
	v_add_f32_e32 v47, v52, v46
	v_sub_f32_e32 v53, v49, v47
	v_sub_f32_e32 v49, v49, v53
	;; [unrolled: 1-line block ×4, first 2 shown]
	v_add_f32_e32 v40, v40, v47
	v_sub_f32_e32 v46, v52, v46
	v_add_f32_e32 v40, v46, v40
	v_add_f32_e32 v46, v48, v50
	;; [unrolled: 1-line block ×3, first 2 shown]
	v_sub_f32_e32 v47, v46, v48
	v_mul_f32_e32 v40, v51, v40
	v_sub_f32_e32 v47, v50, v47
	v_add_f32_e32 v40, v47, v40
	v_cvt_f32_i32_e32 v39, v39
	v_add_f32_e32 v47, v46, v40
	v_mul_f32_e32 v48, v47, v47
	v_mov_b32_e32 v49, 0x3ecc95a3
	v_fmac_f32_e32 v49, 0x3e9b6dac, v48
	v_mov_b32_e32 v50, 0x3f2aaada
	v_fmac_f32_e32 v50, v48, v49
	s_mov_b32 s0, 0x3f317218
	v_mul_f32_e32 v49, 0x3f317218, v39
	v_fma_f32 v51, v39, s0, -v49
	v_fmac_f32_e32 v51, 0xb102e308, v39
	v_sub_f32_e32 v39, v47, v46
	v_sub_f32_e32 v39, v40, v39
	v_add_f32_e32 v40, v49, v51
	v_sub_f32_e32 v46, v40, v49
	v_ldexp_f32 v49, v47, 1
	v_mul_f32_e32 v47, v47, v48
	v_mul_f32_e32 v47, v47, v50
	v_add_f32_e32 v48, v49, v47
	v_sub_f32_e32 v49, v48, v49
	v_ldexp_f32 v39, v39, 1
	v_sub_f32_e32 v47, v47, v49
	v_add_f32_e32 v39, v39, v47
	v_add_f32_e32 v47, v48, v39
	v_sub_f32_e32 v48, v47, v48
	v_sub_f32_e32 v39, v39, v48
	v_add_f32_e32 v48, v40, v47
	v_sub_f32_e32 v49, v48, v40
	v_sub_f32_e32 v50, v48, v49
	;; [unrolled: 1-line block ×5, first 2 shown]
	v_add_f32_e32 v40, v47, v40
	v_add_f32_e32 v47, v46, v39
	v_sub_f32_e32 v49, v47, v46
	v_sub_f32_e32 v50, v47, v49
	;; [unrolled: 1-line block ×4, first 2 shown]
	v_add_f32_e32 v40, v47, v40
	v_add_f32_e32 v39, v39, v46
	;; [unrolled: 1-line block ×3, first 2 shown]
	v_sub_f32_e32 v47, v46, v48
	v_sub_f32_e32 v40, v40, v47
	v_add_f32_e32 v39, v39, v40
	v_add_f32_e32 v39, v46, v39
	v_cmp_neq_f32_e64 s[0:1], s7, v45
	v_cndmask_b32_e64 v39, v43, v39, s[0:1]
	s_mov_b32 s0, 0x33800000
	v_cmp_gt_f32_e64 s[0:1], s0, v45
	v_cndmask_b32_e64 v45, v39, v45, s[0:1]
.LBB9_4:
	s_or_b64 exec, exec, s[8:9]
	s_load_dwordx4 s[36:39], s[4:5], 0x70
	s_mul_i32 s4, s27, s6
	v_mul_f32_e32 v39, v45, v13
	s_mov_b32 s9, 0x3fb8aa3b
	v_mul_f32_e32 v40, v45, v14
	s_waitcnt lgkmcnt(0)
	s_mul_i32 s1, s6, s39
	s_mul_hi_u32 s5, s6, s38
	s_mul_i32 s0, s6, s38
	s_add_i32 s1, s5, s1
	s_lshl_b64 s[0:1], s[0:1], 5
	s_add_u32 s13, s22, s0
	s_addc_u32 s12, s23, s1
	s_ashr_i32 s18, s31, 2
	s_add_u32 s0, s10, s4
	s_addc_u32 s1, s11, 0
	s_add_u32 s4, s0, s2
	s_addc_u32 s5, s1, s3
	global_load_dword v43, v0, s[4:5]
	v_mul_f32_e32 v62, 0x3fb8aa3b, v39
	v_mul_f32_e32 v47, v45, v15
	;; [unrolled: 1-line block ×3, first 2 shown]
	v_fma_f32 v66, v39, s9, -v62
	v_rndne_f32_e32 v67, v62
	v_mul_f32_e32 v48, v45, v16
	v_mul_f32_e32 v64, 0x3fb8aa3b, v47
	v_fma_f32 v68, v40, s9, -v63
	v_rndne_f32_e32 v69, v63
	v_fmac_f32_e32 v66, 0x32a5705f, v39
	v_sub_f32_e32 v62, v62, v67
	v_mul_f32_e32 v65, 0x3fb8aa3b, v48
	v_fma_f32 v70, v47, s9, -v64
	v_rndne_f32_e32 v71, v64
	v_fmac_f32_e32 v68, 0x32a5705f, v40
	v_sub_f32_e32 v63, v63, v69
	v_add_f32_e32 v62, v62, v66
	v_fma_f32 v72, v48, s9, -v65
	v_rndne_f32_e32 v73, v65
	v_fmac_f32_e32 v70, 0x32a5705f, v47
	v_sub_f32_e32 v64, v64, v71
	v_cvt_i32_f32_e32 v67, v67
	v_add_f32_e32 v63, v63, v68
	v_exp_f32_e32 v62, v62
	v_fmac_f32_e32 v72, 0x32a5705f, v48
	v_sub_f32_e32 v65, v65, v73
	v_cvt_i32_f32_e32 v69, v69
	v_add_f32_e32 v64, v64, v70
	v_exp_f32_e32 v63, v63
	v_cvt_i32_f32_e32 v71, v71
	v_add_f32_e32 v65, v65, v72
	v_exp_f32_e32 v64, v64
	s_mov_b32 s7, 0xc2ce8ed0
	v_cvt_i32_f32_e32 v73, v73
	v_exp_f32_e32 v65, v65
	v_ldexp_f32 v62, v62, v67
	v_cmp_ngt_f32_e64 s[0:1], s7, v39
	v_ldexp_f32 v63, v63, v69
	v_cndmask_b32_e64 v62, 0, v62, s[0:1]
	v_cmp_ngt_f32_e64 s[0:1], s7, v40
	v_ldexp_f32 v64, v64, v71
	v_cndmask_b32_e64 v63, 0, v63, s[0:1]
	v_cmp_ngt_f32_e64 s[0:1], s7, v47
	v_mov_b32_e32 v53, 0
	s_mov_b32 s8, 0x42b17218
	v_ldexp_f32 v65, v65, v73
	v_cndmask_b32_e64 v64, 0, v64, s[0:1]
	v_cmp_ngt_f32_e64 s[0:1], s7, v48
	v_mov_b32_e32 v46, 0x7f800000
	ds_read_b128 v[49:52], v53
	ds_read_b128 v[54:57], v53 offset:16
	ds_read_b128 v[58:61], v53 offset:64
	v_cndmask_b32_e64 v65, 0, v65, s[0:1]
	v_cmp_nlt_f32_e64 s[0:1], s8, v39
	v_cndmask_b32_e64 v62, v46, v62, s[0:1]
	v_cmp_nlt_f32_e64 s[0:1], s8, v40
	;; [unrolled: 2-line block ×4, first 2 shown]
	v_cndmask_b32_e64 v65, v46, v65, s[0:1]
	v_mov_b32_e32 v40, s5
	s_add_u32 s2, s13, s2
	v_add_co_u32_e64 v39, s[0:1], s4, v0
	v_addc_co_u32_e64 v40, s[0:1], 0, v40, s[0:1]
	s_addc_u32 s3, s12, s3
	v_mov_b32_e32 v66, s3
	s_ashr_i32 s20, s41, 2
	s_ashr_i32 s19, s18, 31
	;; [unrolled: 1-line block ×3, first 2 shown]
	s_waitcnt vmcnt(0)
	v_mul_f32_e32 v67, v45, v43
	s_waitcnt lgkmcnt(2)
	v_mul_f32_e32 v48, v67, v51
	v_mul_f32_e32 v47, v67, v52
	v_fmac_f32_e32 v48, v31, v64
	v_mul_f32_e32 v31, v45, v9
	v_fmac_f32_e32 v47, v32, v65
	v_mul_f32_e32 v32, 0x3fb8aa3b, v31
	v_fma_f32 v43, v31, s9, -v32
	v_rndne_f32_e32 v51, v32
	v_fmac_f32_e32 v43, 0x32a5705f, v31
	v_sub_f32_e32 v32, v32, v51
	v_add_f32_e32 v32, v32, v43
	v_exp_f32_e32 v32, v32
	v_cvt_i32_f32_e32 v43, v51
	v_mul_f32_e32 v49, v67, v49
	v_mul_f32_e32 v50, v67, v50
	v_fmac_f32_e32 v49, v29, v62
	v_ldexp_f32 v32, v32, v43
	v_mul_f32_e32 v43, v45, v10
	v_add_co_u32_e64 v29, s[0:1], s2, v0
	v_mul_f32_e32 v51, 0x3fb8aa3b, v43
	v_fmac_f32_e32 v50, v30, v63
	v_addc_co_u32_e64 v30, s[0:1], 0, v66, s[0:1]
	s_waitcnt lgkmcnt(0)
	v_fma_f32 v66, v58, v49, 0
	v_fma_f32 v52, v43, s9, -v51
	v_rndne_f32_e32 v58, v51
	v_fmac_f32_e32 v52, 0x32a5705f, v43
	v_sub_f32_e32 v51, v51, v58
	v_add_f32_e32 v51, v51, v52
	v_cmp_ngt_f32_e64 s[0:1], s7, v31
	v_exp_f32_e32 v51, v51
	v_cvt_i32_f32_e32 v52, v58
	v_cndmask_b32_e64 v32, 0, v32, s[0:1]
	v_cmp_nlt_f32_e64 s[0:1], s8, v31
	v_cndmask_b32_e64 v32, v46, v32, s[0:1]
	v_mul_f32_e32 v31, v67, v54
	v_fmac_f32_e32 v31, v25, v32
	v_mul_f32_e32 v32, v45, v11
	v_ldexp_f32 v25, v51, v52
	v_mul_f32_e32 v51, 0x3fb8aa3b, v32
	v_fma_f32 v52, v32, s9, -v51
	v_rndne_f32_e32 v54, v51
	v_fmac_f32_e32 v52, 0x32a5705f, v32
	v_sub_f32_e32 v51, v51, v54
	v_cmp_ngt_f32_e64 s[0:1], s7, v43
	v_add_f32_e32 v51, v51, v52
	v_cndmask_b32_e64 v25, 0, v25, s[0:1]
	v_exp_f32_e32 v52, v51
	v_cvt_i32_f32_e32 v54, v54
	v_cmp_nlt_f32_e64 s[0:1], s8, v43
	v_cndmask_b32_e64 v25, v46, v25, s[0:1]
	v_mul_f32_e32 v51, v67, v55
	v_fmac_f32_e32 v51, v26, v25
	v_mul_f32_e32 v26, v45, v12
	v_mul_f32_e32 v43, 0x3fb8aa3b, v26
	v_ldexp_f32 v25, v52, v54
	v_fma_f32 v52, v26, s9, -v43
	v_rndne_f32_e32 v54, v43
	v_fmac_f32_e32 v52, 0x32a5705f, v26
	v_sub_f32_e32 v43, v43, v54
	v_add_f32_e32 v43, v43, v52
	v_exp_f32_e32 v43, v43
	v_cvt_i32_f32_e32 v54, v54
	v_cmp_ngt_f32_e64 s[0:1], s7, v32
	v_cndmask_b32_e64 v25, 0, v25, s[0:1]
	v_cmp_nlt_f32_e64 s[0:1], s8, v32
	v_cndmask_b32_e64 v25, v46, v25, s[0:1]
	v_mul_f32_e32 v52, v67, v56
	v_fmac_f32_e32 v52, v27, v25
	v_ldexp_f32 v27, v43, v54
	v_cmp_ngt_f32_e64 s[0:1], s7, v26
	v_cndmask_b32_e64 v27, 0, v27, s[0:1]
	v_cmp_nlt_f32_e64 s[0:1], s8, v26
	v_mul_f32_e32 v25, v67, v57
	v_cndmask_b32_e64 v26, v46, v27, s[0:1]
	v_fmac_f32_e32 v25, v28, v26
	v_mul_f32_e32 v26, v45, v5
	v_mul_f32_e32 v27, 0x3fb8aa3b, v26
	v_fma_f32 v28, v26, s9, -v27
	v_rndne_f32_e32 v32, v27
	v_fmac_f32_e32 v28, 0x32a5705f, v26
	v_sub_f32_e32 v27, v27, v32
	v_add_f32_e32 v27, v27, v28
	v_exp_f32_e32 v27, v27
	v_cvt_i32_f32_e32 v28, v32
	ds_read_b128 v[62:65], v53 offset:80
	v_mul_f32_e32 v32, v45, v6
	ds_read_b128 v[54:57], v53 offset:32
	v_ldexp_f32 v27, v27, v28
	v_mul_f32_e32 v28, 0x3fb8aa3b, v32
	v_fmac_f32_e32 v66, v59, v50
	v_fma_f32 v43, v32, s9, -v28
	v_rndne_f32_e32 v58, v28
	v_fmac_f32_e32 v66, v60, v48
	v_fmac_f32_e32 v43, 0x32a5705f, v32
	v_sub_f32_e32 v28, v28, v58
	v_fmac_f32_e32 v66, v61, v47
	v_cmp_ngt_f32_e64 s[0:1], s7, v26
	v_add_f32_e32 v28, v28, v43
	s_waitcnt lgkmcnt(1)
	v_fmac_f32_e32 v66, v62, v31
	v_cndmask_b32_e64 v27, 0, v27, s[0:1]
	v_exp_f32_e32 v43, v28
	v_cvt_i32_f32_e32 v62, v58
	v_cmp_nlt_f32_e64 s[0:1], s8, v26
	v_cndmask_b32_e64 v26, v46, v27, s[0:1]
	ds_read_b128 v[58:61], v53 offset:48
	s_waitcnt lgkmcnt(1)
	v_mul_f32_e32 v28, v67, v54
	v_fmac_f32_e32 v28, v21, v26
	v_mul_f32_e32 v26, v45, v7
	v_mul_f32_e32 v27, 0x3fb8aa3b, v26
	v_ldexp_f32 v21, v43, v62
	v_fma_f32 v43, v26, s9, -v27
	v_rndne_f32_e32 v54, v27
	v_fmac_f32_e32 v43, 0x32a5705f, v26
	v_sub_f32_e32 v27, v27, v54
	v_add_f32_e32 v27, v27, v43
	v_exp_f32_e32 v27, v27
	v_cvt_i32_f32_e32 v54, v54
	v_cmp_ngt_f32_e64 s[0:1], s7, v32
	v_cndmask_b32_e64 v21, 0, v21, s[0:1]
	v_cmp_nlt_f32_e64 s[0:1], s8, v32
	v_cndmask_b32_e64 v21, v46, v21, s[0:1]
	v_mul_f32_e32 v43, v67, v55
	v_fmac_f32_e32 v43, v22, v21
	v_ldexp_f32 v21, v27, v54
	v_cmp_ngt_f32_e64 s[0:1], s7, v26
	v_mul_f32_e32 v22, v45, v8
	v_cndmask_b32_e64 v21, 0, v21, s[0:1]
	v_cmp_nlt_f32_e64 s[0:1], s8, v26
	v_mul_f32_e32 v26, 0x3fb8aa3b, v22
	v_fma_f32 v27, v22, s9, -v26
	v_rndne_f32_e32 v32, v26
	v_fmac_f32_e32 v27, 0x32a5705f, v22
	v_sub_f32_e32 v26, v26, v32
	v_add_f32_e32 v26, v26, v27
	v_exp_f32_e32 v62, v26
	v_cvt_i32_f32_e32 v32, v32
	v_cndmask_b32_e64 v21, v46, v21, s[0:1]
	v_mul_f32_e32 v27, v67, v56
	v_fmac_f32_e32 v27, v23, v21
	v_ldexp_f32 v21, v62, v32
	v_cmp_ngt_f32_e64 s[0:1], s7, v22
	v_cndmask_b32_e64 v21, 0, v21, s[0:1]
	v_cmp_nlt_f32_e64 s[0:1], s8, v22
	v_mul_f32_e32 v26, v67, v57
	v_cndmask_b32_e64 v21, v46, v21, s[0:1]
	v_fmac_f32_e32 v26, v24, v21
	v_mul_f32_e32 v21, v45, v1
	v_mul_f32_e32 v22, 0x3fb8aa3b, v21
	v_fma_f32 v23, v21, s9, -v22
	v_rndne_f32_e32 v24, v22
	v_fmac_f32_e32 v23, 0x32a5705f, v21
	v_sub_f32_e32 v22, v22, v24
	v_add_f32_e32 v22, v22, v23
	v_exp_f32_e32 v22, v22
	v_cvt_i32_f32_e32 v23, v24
	v_fmac_f32_e32 v66, v63, v51
	v_fmac_f32_e32 v66, v64, v52
	;; [unrolled: 1-line block ×3, first 2 shown]
	v_ldexp_f32 v22, v22, v23
	v_mul_f32_e32 v23, v45, v2
	v_mul_f32_e32 v24, 0x3fb8aa3b, v23
	ds_read_b128 v[54:57], v53 offset:96
	ds_read_b128 v[62:65], v53 offset:112
	v_fma_f32 v32, v23, s9, -v24
	v_rndne_f32_e32 v53, v24
	v_fmac_f32_e32 v32, 0x32a5705f, v23
	v_sub_f32_e32 v24, v24, v53
	v_cmp_ngt_f32_e64 s[0:1], s7, v21
	v_add_f32_e32 v24, v24, v32
	v_cndmask_b32_e64 v22, 0, v22, s[0:1]
	v_exp_f32_e32 v32, v24
	v_cvt_i32_f32_e32 v53, v53
	v_cmp_nlt_f32_e64 s[0:1], s8, v21
	v_cndmask_b32_e64 v21, v46, v22, s[0:1]
	s_waitcnt lgkmcnt(2)
	v_mul_f32_e32 v24, v67, v58
	v_fmac_f32_e32 v24, v17, v21
	v_mul_f32_e32 v21, v45, v3
	v_mul_f32_e32 v22, 0x3fb8aa3b, v21
	v_ldexp_f32 v17, v32, v53
	v_fma_f32 v32, v21, s9, -v22
	v_rndne_f32_e32 v53, v22
	v_fmac_f32_e32 v32, 0x32a5705f, v21
	v_sub_f32_e32 v22, v22, v53
	v_add_f32_e32 v22, v22, v32
	v_cmp_ngt_f32_e64 s[0:1], s7, v23
	v_exp_f32_e32 v22, v22
	v_cvt_i32_f32_e32 v32, v53
	v_cndmask_b32_e64 v17, 0, v17, s[0:1]
	v_cmp_nlt_f32_e64 s[0:1], s8, v23
	v_cndmask_b32_e64 v17, v46, v17, s[0:1]
	v_mul_f32_e32 v53, v67, v59
	v_fmac_f32_e32 v53, v18, v17
	v_mul_f32_e32 v18, v45, v4
	v_ldexp_f32 v17, v22, v32
	v_mul_f32_e32 v22, 0x3fb8aa3b, v18
	v_fma_f32 v23, v18, s9, -v22
	v_rndne_f32_e32 v32, v22
	v_fmac_f32_e32 v23, 0x32a5705f, v18
	v_sub_f32_e32 v22, v22, v32
	v_add_f32_e32 v22, v22, v23
	v_exp_f32_e32 v23, v22
	v_cvt_i32_f32_e32 v32, v32
	s_waitcnt lgkmcnt(1)
	v_fmac_f32_e32 v66, v54, v28
	v_cmp_ngt_f32_e64 s[0:1], s7, v21
	v_fmac_f32_e32 v66, v55, v43
	v_cndmask_b32_e64 v17, 0, v17, s[0:1]
	v_cmp_nlt_f32_e64 s[0:1], s8, v21
	v_fmac_f32_e32 v66, v56, v27
	v_cndmask_b32_e64 v17, v46, v17, s[0:1]
	v_mul_f32_e32 v22, v67, v60
	v_fmac_f32_e32 v66, v57, v26
	v_fmac_f32_e32 v22, v19, v17
	v_ldexp_f32 v17, v23, v32
	v_cmp_ngt_f32_e64 s[0:1], s7, v18
	s_waitcnt lgkmcnt(0)
	v_fmac_f32_e32 v66, v62, v24
	v_cndmask_b32_e64 v17, 0, v17, s[0:1]
	v_cmp_nlt_f32_e64 s[0:1], s8, v18
	v_fmac_f32_e32 v66, v63, v53
	v_cndmask_b32_e64 v17, v46, v17, s[0:1]
	v_mul_f32_e32 v21, v67, v61
	v_fmac_f32_e32 v66, v64, v22
	v_fmac_f32_e32 v21, v20, v17
	;; [unrolled: 1-line block ×3, first 2 shown]
	global_store_dword v0, v66, s[2:3]
	s_waitcnt vmcnt(0)
	s_barrier
	s_and_saveexec_b64 s[2:3], vcc
	s_cbranch_execz .LBB9_6
; %bb.5:
	s_lshl_b64 s[0:1], s[18:19], 2
	v_mov_b32_e32 v18, s1
	v_add_co_u32_e64 v17, s[0:1], s0, v35
	v_addc_co_u32_e64 v18, s[0:1], v36, v18, s[0:1]
	s_lshl_b64 s[0:1], s[20:21], 2
	global_load_dword v19, v[17:18], off
	v_mov_b32_e32 v18, s1
	v_add_co_u32_e64 v17, s[0:1], s0, v37
	v_addc_co_u32_e64 v18, s[0:1], v38, v18, s[0:1]
	global_load_dword v17, v[17:18], off
	s_waitcnt vmcnt(1)
	ds_write_b32 v0, v19
	s_waitcnt vmcnt(0)
	ds_write_b32 v41, v17
.LBB9_6:
	s_or_b64 exec, exec, s[2:3]
	s_ashr_i32 s0, s28, 2
	s_ashr_i32 s1, s0, 31
	s_lshl_b64 s[28:29], s[0:1], 2
	v_mov_b32_e32 v18, s29
	v_add_co_u32_e64 v17, s[0:1], s28, v42
	v_addc_co_u32_e64 v18, s[0:1], v44, v18, s[0:1]
	s_waitcnt lgkmcnt(0)
	s_barrier
	global_load_dword v23, v[17:18], off
	s_mov_b32 s0, 0x41a00000
	s_waitcnt vmcnt(0)
	v_cmp_ge_f32_e64 s[0:1], s0, v23
	s_and_saveexec_b64 s[2:3], s[0:1]
	s_cbranch_execz .LBB9_8
; %bb.7:
	v_mul_f32_e32 v19, 0x3fb8aa3b, v23
	s_mov_b32 s0, 0x3fb8aa3b
	v_rndne_f32_e32 v20, v19
	v_sub_f32_e32 v32, v19, v20
	v_fma_f32 v19, v23, s0, -v19
	v_fmac_f32_e32 v19, 0x32a5705f, v23
	v_add_f32_e32 v19, v32, v19
	v_exp_f32_e32 v19, v19
	v_cvt_i32_f32_e32 v20, v20
	s_mov_b32 s0, 0xc2ce8ed0
	v_cmp_ngt_f32_e64 s[0:1], s0, v23
	v_mov_b32_e32 v32, 0x7f800000
	v_ldexp_f32 v19, v19, v20
	v_cndmask_b32_e64 v19, 0, v19, s[0:1]
	s_mov_b32 s0, 0x42b17218
	v_cmp_nlt_f32_e64 s[0:1], s0, v23
	v_cndmask_b32_e64 v23, v32, v19, s[0:1]
	v_add_f32_e32 v42, 1.0, v23
	v_cvt_f64_f32_e32 v[19:20], v42
	v_add_f32_e32 v44, -1.0, v42
	v_sub_f32_e32 v45, v44, v42
	v_sub_f32_e32 v44, v23, v44
	v_frexp_exp_i32_f64_e32 v19, v[19:20]
	v_add_f32_e32 v20, 1.0, v45
	v_add_f32_e32 v20, v44, v20
	v_frexp_mant_f32_e32 v44, v42
	s_mov_b32 s0, 0x3f2aaaab
	v_cmp_gt_f32_e64 s[0:1], s0, v44
	s_mov_b32 s4, 0x7f800000
	v_subbrev_co_u32_e64 v19, s[0:1], 0, v19, s[0:1]
	v_sub_u32_e32 v44, 0, v19
	v_ldexp_f32 v42, v42, v44
	v_ldexp_f32 v20, v20, v44
	v_add_f32_e32 v44, -1.0, v42
	v_add_f32_e32 v54, 1.0, v42
	v_add_f32_e32 v45, 1.0, v44
	v_add_f32_e32 v55, -1.0, v54
	v_sub_f32_e32 v45, v42, v45
	v_sub_f32_e32 v42, v42, v55
	v_add_f32_e32 v45, v20, v45
	v_add_f32_e32 v20, v20, v42
	;; [unrolled: 1-line block ×3, first 2 shown]
	v_rcp_f32_e32 v55, v42
	v_add_f32_e32 v46, v44, v45
	v_sub_f32_e32 v44, v44, v46
	v_add_f32_e32 v44, v45, v44
	v_sub_f32_e32 v45, v54, v42
	v_add_f32_e32 v20, v20, v45
	v_mul_f32_e32 v45, v46, v55
	v_mul_f32_e32 v54, v42, v45
	v_fma_f32 v56, v45, v42, -v54
	v_fmac_f32_e32 v56, v45, v20
	v_add_f32_e32 v57, v54, v56
	v_sub_f32_e32 v58, v46, v57
	v_sub_f32_e32 v46, v46, v58
	;; [unrolled: 1-line block ×4, first 2 shown]
	v_add_f32_e32 v44, v44, v46
	v_sub_f32_e32 v46, v54, v56
	v_add_f32_e32 v44, v46, v44
	v_add_f32_e32 v46, v58, v44
	v_mul_f32_e32 v54, v55, v46
	v_mul_f32_e32 v56, v42, v54
	v_fma_f32 v42, v54, v42, -v56
	v_fmac_f32_e32 v42, v54, v20
	v_sub_f32_e32 v20, v58, v46
	v_add_f32_e32 v20, v44, v20
	v_add_f32_e32 v44, v56, v42
	v_sub_f32_e32 v57, v46, v44
	v_sub_f32_e32 v46, v46, v57
	;; [unrolled: 1-line block ×4, first 2 shown]
	v_add_f32_e32 v20, v20, v44
	v_sub_f32_e32 v42, v56, v42
	v_add_f32_e32 v20, v42, v20
	v_add_f32_e32 v42, v45, v54
	;; [unrolled: 1-line block ×3, first 2 shown]
	v_sub_f32_e32 v44, v42, v45
	v_mul_f32_e32 v20, v55, v20
	v_sub_f32_e32 v44, v54, v44
	v_add_f32_e32 v20, v44, v20
	v_cvt_f32_i32_e32 v19, v19
	v_add_f32_e32 v44, v42, v20
	v_mul_f32_e32 v45, v44, v44
	v_mov_b32_e32 v46, 0x3ecc95a3
	v_fmac_f32_e32 v46, 0x3e9b6dac, v45
	v_mov_b32_e32 v54, 0x3f2aaada
	v_fmac_f32_e32 v54, v45, v46
	s_mov_b32 s0, 0x3f317218
	v_mul_f32_e32 v46, 0x3f317218, v19
	v_fma_f32 v55, v19, s0, -v46
	v_fmac_f32_e32 v55, 0xb102e308, v19
	v_sub_f32_e32 v19, v44, v42
	v_sub_f32_e32 v19, v20, v19
	v_add_f32_e32 v20, v46, v55
	v_sub_f32_e32 v42, v20, v46
	v_ldexp_f32 v46, v44, 1
	v_mul_f32_e32 v44, v44, v45
	v_mul_f32_e32 v44, v44, v54
	v_add_f32_e32 v45, v46, v44
	v_sub_f32_e32 v46, v45, v46
	v_ldexp_f32 v19, v19, 1
	v_sub_f32_e32 v44, v44, v46
	v_add_f32_e32 v19, v19, v44
	v_add_f32_e32 v44, v45, v19
	v_sub_f32_e32 v45, v44, v45
	v_sub_f32_e32 v19, v19, v45
	v_add_f32_e32 v45, v20, v44
	v_sub_f32_e32 v46, v45, v20
	v_sub_f32_e32 v54, v45, v46
	;; [unrolled: 1-line block ×5, first 2 shown]
	v_add_f32_e32 v20, v44, v20
	v_add_f32_e32 v44, v42, v19
	v_sub_f32_e32 v46, v44, v42
	v_sub_f32_e32 v54, v44, v46
	;; [unrolled: 1-line block ×4, first 2 shown]
	v_add_f32_e32 v20, v44, v20
	v_add_f32_e32 v19, v19, v42
	;; [unrolled: 1-line block ×3, first 2 shown]
	v_sub_f32_e32 v44, v42, v45
	v_sub_f32_e32 v20, v20, v44
	v_add_f32_e32 v19, v19, v20
	v_add_f32_e32 v19, v42, v19
	v_cmp_neq_f32_e64 s[0:1], s4, v23
	v_cndmask_b32_e64 v19, v32, v19, s[0:1]
	s_mov_b32 s0, 0x33800000
	v_cmp_gt_f32_e64 s[0:1], s0, v23
	v_cndmask_b32_e64 v23, v19, v23, s[0:1]
.LBB9_8:
	s_or_b64 exec, exec, s[2:3]
	s_ashr_i32 s26, s26, 2
	s_ashr_i32 s27, s26, 31
	s_lshl_b64 s[30:31], s[26:27], 2
	v_add_co_u32_e64 v19, s[0:1], s30, v39
	v_mov_b32_e32 v20, s31
	v_addc_co_u32_e64 v20, s[0:1], v40, v20, s[0:1]
	global_load_dword v32, v[19:20], off
	v_mov_b32_e32 v54, 0
	ds_read_b128 v[56:59], v54
	v_mul_f32_e32 v60, v23, v13
	s_mov_b32 s7, 0x3fb8aa3b
	v_mul_f32_e32 v61, v23, v14
	v_mul_f32_e32 v62, v23, v15
	v_mul_f32_e32 v64, 0x3fb8aa3b, v60
	s_mov_b32 s24, 0xc2ce8ed0
	s_mov_b32 s27, 0x42b17218
	v_mul_f32_e32 v63, v23, v16
	v_cmp_ngt_f32_e64 s[10:11], s24, v60
	v_cmp_nlt_f32_e64 s[4:5], s27, v60
	v_cmp_ngt_f32_e64 s[16:17], s24, v61
	v_cmp_nlt_f32_e64 s[14:15], s27, v61
	;; [unrolled: 2-line block ×4, first 2 shown]
	s_waitcnt vmcnt(0)
	v_mul_f32_e32 v55, v23, v32
	s_waitcnt lgkmcnt(0)
	v_mul_f32_e32 v46, v55, v56
	v_mul_f32_e32 v45, v55, v57
	;; [unrolled: 1-line block ×4, first 2 shown]
	v_fma_f32 v57, v60, s7, -v64
	v_mul_f32_e32 v44, v55, v58
	v_mul_f32_e32 v42, v55, v59
	v_fmac_f32_e32 v57, 0x32a5705f, v60
	v_fma_f32 v58, v61, s7, -v32
	v_fma_f32 v59, v62, s7, -v56
	v_mul_f32_e32 v60, 0x3fb8aa3b, v63
	v_fmac_f32_e32 v58, 0x32a5705f, v61
	v_fmac_f32_e32 v59, 0x32a5705f, v62
	v_fma_f32 v61, v63, s7, -v60
	v_rndne_f32_e32 v62, v64
	v_fmac_f32_e32 v61, 0x32a5705f, v63
	v_sub_f32_e32 v63, v64, v62
	v_add_f32_e32 v57, v63, v57
	v_rndne_f32_e32 v63, v32
	v_sub_f32_e32 v32, v32, v63
	v_cvt_i32_f32_e32 v62, v62
	v_exp_f32_e32 v57, v57
	v_add_f32_e32 v32, v32, v58
	v_rndne_f32_e32 v58, v56
	v_sub_f32_e32 v56, v56, v58
	v_add_f32_e32 v56, v56, v59
	v_ldexp_f32 v57, v57, v62
	v_cvt_i32_f32_e32 v62, v63
	v_exp_f32_e32 v32, v32
	v_cvt_i32_f32_e32 v58, v58
	v_exp_f32_e32 v56, v56
	v_rndne_f32_e32 v59, v60
	v_sub_f32_e32 v60, v60, v59
	v_add_f32_e32 v60, v60, v61
	v_ldexp_f32 v32, v32, v62
	v_ldexp_f32 v62, v56, v58
	v_cvt_i32_f32_e32 v56, v59
	v_exp_f32_e32 v58, v60
	v_cndmask_b32_e64 v57, 0, v57, s[10:11]
	v_mul_f32_e32 v61, v23, v9
	v_cndmask_b32_e64 v32, 0, v32, s[16:17]
	v_ldexp_f32 v63, v58, v56
	v_mov_b32_e32 v56, 0x7f800000
	v_cndmask_b32_e64 v57, v56, v57, s[4:5]
	v_fmac_f32_e32 v46, v49, v57
	ds_read_b128 v[57:60], v54 offset:64
	v_mul_f32_e32 v64, 0x3fb8aa3b, v61
	v_cndmask_b32_e64 v32, v56, v32, s[14:15]
	v_fma_f32 v65, v61, s7, -v64
	v_rndne_f32_e32 v66, v64
	v_fmac_f32_e32 v45, v50, v32
	v_cndmask_b32_e64 v49, 0, v62, s[2:3]
	v_cndmask_b32_e64 v50, 0, v63, s[12:13]
	v_fmac_f32_e32 v65, 0x32a5705f, v61
	v_sub_f32_e32 v64, v64, v66
	v_cndmask_b32_e64 v49, v56, v49, s[0:1]
	v_cndmask_b32_e64 v50, v56, v50, s[8:9]
	v_add_f32_e32 v64, v64, v65
	v_fmac_f32_e32 v44, v48, v49
	v_fmac_f32_e32 v42, v47, v50
	ds_read_b128 v[47:50], v54 offset:16
	s_waitcnt lgkmcnt(1)
	v_fma_f32 v57, v57, v46, 0
	v_exp_f32_e32 v32, v64
	v_fmac_f32_e32 v57, v58, v45
	v_cvt_i32_f32_e32 v58, v66
	v_fmac_f32_e32 v57, v59, v44
	v_cmp_ngt_f32_e64 s[0:1], s24, v61
	v_fmac_f32_e32 v57, v60, v42
	v_ldexp_f32 v32, v32, v58
	v_mul_f32_e32 v58, v23, v10
	v_mul_f32_e32 v59, 0x3fb8aa3b, v58
	v_cndmask_b32_e64 v32, 0, v32, s[0:1]
	v_cmp_nlt_f32_e64 s[0:1], s27, v61
	v_fma_f32 v60, v58, s7, -v59
	v_rndne_f32_e32 v61, v59
	v_fmac_f32_e32 v60, 0x32a5705f, v58
	v_sub_f32_e32 v59, v59, v61
	v_add_f32_e32 v59, v59, v60
	v_exp_f32_e32 v59, v59
	v_cvt_i32_f32_e32 v60, v61
	v_cndmask_b32_e64 v32, v56, v32, s[0:1]
	s_waitcnt lgkmcnt(0)
	v_mul_f32_e32 v47, v55, v47
	v_fmac_f32_e32 v47, v31, v32
	v_ldexp_f32 v31, v59, v60
	v_cmp_ngt_f32_e64 s[0:1], s24, v58
	v_cndmask_b32_e64 v31, 0, v31, s[0:1]
	v_cmp_nlt_f32_e64 s[0:1], s27, v58
	v_mul_f32_e32 v58, v23, v11
	v_mul_f32_e32 v32, 0x3fb8aa3b, v58
	v_fma_f32 v59, v58, s7, -v32
	v_rndne_f32_e32 v60, v32
	v_fmac_f32_e32 v59, 0x32a5705f, v58
	v_sub_f32_e32 v32, v32, v60
	v_add_f32_e32 v32, v32, v59
	v_exp_f32_e32 v59, v32
	v_cvt_i32_f32_e32 v60, v60
	v_cndmask_b32_e64 v31, v56, v31, s[0:1]
	v_mul_f32_e32 v32, v55, v48
	v_mul_f32_e32 v48, v23, v12
	v_fmac_f32_e32 v32, v51, v31
	v_ldexp_f32 v31, v59, v60
	v_cmp_ngt_f32_e64 s[0:1], s24, v58
	v_mul_f32_e32 v51, 0x3fb8aa3b, v48
	v_cndmask_b32_e64 v31, 0, v31, s[0:1]
	v_cmp_nlt_f32_e64 s[0:1], s27, v58
	v_fma_f32 v58, v48, s7, -v51
	v_rndne_f32_e32 v59, v51
	v_fmac_f32_e32 v58, 0x32a5705f, v48
	v_sub_f32_e32 v51, v51, v59
	v_add_f32_e32 v51, v51, v58
	v_exp_f32_e32 v51, v51
	v_cvt_i32_f32_e32 v58, v59
	v_cndmask_b32_e64 v59, v56, v31, s[0:1]
	v_mul_f32_e32 v31, v55, v49
	v_fmac_f32_e32 v31, v52, v59
	v_ldexp_f32 v49, v51, v58
	ds_read_b128 v[58:61], v54 offset:80
	v_cmp_ngt_f32_e64 s[0:1], s24, v48
	v_cndmask_b32_e64 v49, 0, v49, s[0:1]
	v_cmp_nlt_f32_e64 s[0:1], s27, v48
	v_mul_f32_e32 v48, v55, v50
	v_mul_f32_e32 v50, v23, v5
	;; [unrolled: 1-line block ×3, first 2 shown]
	s_waitcnt lgkmcnt(0)
	v_fmac_f32_e32 v57, v58, v47
	v_fma_f32 v52, v50, s7, -v51
	v_rndne_f32_e32 v58, v51
	v_fmac_f32_e32 v52, 0x32a5705f, v50
	v_sub_f32_e32 v51, v51, v58
	v_add_f32_e32 v51, v51, v52
	v_exp_f32_e32 v51, v51
	v_cvt_i32_f32_e32 v52, v58
	v_cndmask_b32_e64 v49, v56, v49, s[0:1]
	v_fmac_f32_e32 v48, v25, v49
	v_cmp_ngt_f32_e64 s[0:1], s24, v50
	v_ldexp_f32 v25, v51, v52
	v_mul_f32_e32 v49, v23, v6
	v_fmac_f32_e32 v57, v59, v32
	v_cndmask_b32_e64 v25, 0, v25, s[0:1]
	v_cmp_nlt_f32_e64 s[0:1], s27, v50
	v_mul_f32_e32 v50, 0x3fb8aa3b, v49
	v_fmac_f32_e32 v57, v60, v31
	v_fma_f32 v51, v49, s7, -v50
	v_rndne_f32_e32 v52, v50
	v_fmac_f32_e32 v57, v61, v48
	ds_read_b128 v[58:61], v54 offset:32
	ds_read_b128 v[62:65], v54 offset:96
	v_fmac_f32_e32 v51, 0x32a5705f, v49
	v_sub_f32_e32 v50, v50, v52
	v_add_f32_e32 v50, v50, v51
	v_exp_f32_e32 v50, v50
	v_cvt_i32_f32_e32 v51, v52
	v_cndmask_b32_e64 v25, v56, v25, s[0:1]
	s_waitcnt lgkmcnt(1)
	v_mul_f32_e32 v52, v55, v58
	v_fmac_f32_e32 v52, v28, v25
	v_ldexp_f32 v25, v50, v51
	v_cmp_ngt_f32_e64 s[0:1], s24, v49
	v_mul_f32_e32 v28, v23, v7
	v_cndmask_b32_e64 v25, 0, v25, s[0:1]
	v_cmp_nlt_f32_e64 s[0:1], s27, v49
	v_mul_f32_e32 v49, 0x3fb8aa3b, v28
	v_fma_f32 v50, v28, s7, -v49
	v_rndne_f32_e32 v51, v49
	v_fmac_f32_e32 v50, 0x32a5705f, v28
	v_sub_f32_e32 v49, v49, v51
	v_add_f32_e32 v49, v49, v50
	v_exp_f32_e32 v49, v49
	v_cvt_i32_f32_e32 v50, v51
	v_cndmask_b32_e64 v25, v56, v25, s[0:1]
	v_mul_f32_e32 v51, v55, v59
	v_fmac_f32_e32 v51, v43, v25
	v_ldexp_f32 v25, v49, v50
	v_cmp_ngt_f32_e64 s[0:1], s24, v28
	v_cndmask_b32_e64 v25, 0, v25, s[0:1]
	v_cmp_nlt_f32_e64 s[0:1], s27, v28
	v_mul_f32_e32 v28, v23, v8
	v_mul_f32_e32 v43, 0x3fb8aa3b, v28
	v_fma_f32 v49, v28, s7, -v43
	v_rndne_f32_e32 v50, v43
	v_fmac_f32_e32 v49, 0x32a5705f, v28
	v_sub_f32_e32 v43, v43, v50
	v_add_f32_e32 v43, v43, v49
	v_exp_f32_e32 v43, v43
	v_cvt_i32_f32_e32 v49, v50
	v_cndmask_b32_e64 v25, v56, v25, s[0:1]
	v_mul_f32_e32 v50, v55, v60
	v_fmac_f32_e32 v50, v27, v25
	v_ldexp_f32 v25, v43, v49
	v_mul_f32_e32 v43, v23, v1
	v_cmp_ngt_f32_e64 s[0:1], s24, v28
	v_mul_f32_e32 v27, 0x3fb8aa3b, v43
	v_cndmask_b32_e64 v25, 0, v25, s[0:1]
	v_cmp_nlt_f32_e64 s[0:1], s27, v28
	v_fma_f32 v28, v43, s7, -v27
	v_rndne_f32_e32 v58, v27
	v_fmac_f32_e32 v28, 0x32a5705f, v43
	v_sub_f32_e32 v27, v27, v58
	v_add_f32_e32 v27, v27, v28
	v_exp_f32_e32 v59, v27
	v_cvt_i32_f32_e32 v58, v58
	v_cndmask_b32_e64 v25, v56, v25, s[0:1]
	v_cmp_ngt_f32_e64 s[0:1], s24, v43
	v_mul_f32_e32 v49, v55, v61
	v_ldexp_f32 v58, v59, v58
	v_cndmask_b32_e64 v58, 0, v58, s[0:1]
	v_cmp_nlt_f32_e64 s[0:1], s27, v43
	v_mul_f32_e32 v43, v23, v2
	v_mul_f32_e32 v59, 0x3fb8aa3b, v43
	v_fma_f32 v60, v43, s7, -v59
	v_rndne_f32_e32 v61, v59
	v_fmac_f32_e32 v49, v26, v25
	ds_read_b128 v[25:28], v54 offset:48
	v_fmac_f32_e32 v60, 0x32a5705f, v43
	v_sub_f32_e32 v59, v59, v61
	v_add_f32_e32 v59, v59, v60
	v_exp_f32_e32 v59, v59
	v_cvt_i32_f32_e32 v60, v61
	s_waitcnt lgkmcnt(1)
	v_fmac_f32_e32 v57, v62, v52
	v_fmac_f32_e32 v57, v63, v51
	v_cndmask_b32_e64 v58, v56, v58, s[0:1]
	s_waitcnt lgkmcnt(0)
	v_mul_f32_e32 v63, v55, v25
	v_fmac_f32_e32 v63, v24, v58
	v_ldexp_f32 v24, v59, v60
	v_cmp_ngt_f32_e64 s[0:1], s24, v43
	v_mul_f32_e32 v25, v23, v3
	v_cndmask_b32_e64 v24, 0, v24, s[0:1]
	v_cmp_nlt_f32_e64 s[0:1], s27, v43
	v_mul_f32_e32 v43, 0x3fb8aa3b, v25
	v_fma_f32 v58, v25, s7, -v43
	v_rndne_f32_e32 v59, v43
	v_fmac_f32_e32 v58, 0x32a5705f, v25
	v_sub_f32_e32 v43, v43, v59
	v_add_f32_e32 v43, v43, v58
	v_fmac_f32_e32 v57, v64, v50
	v_exp_f32_e32 v62, v43
	v_cvt_i32_f32_e32 v64, v59
	v_cndmask_b32_e64 v24, v56, v24, s[0:1]
	v_mul_f32_e32 v43, v55, v26
	v_fmac_f32_e32 v43, v53, v24
	v_ldexp_f32 v24, v62, v64
	v_cmp_ngt_f32_e64 s[0:1], s24, v25
	v_cndmask_b32_e64 v24, 0, v24, s[0:1]
	v_cmp_nlt_f32_e64 s[0:1], s27, v25
	ds_read_b128 v[58:61], v54 offset:112
	v_cndmask_b32_e64 v24, v56, v24, s[0:1]
	v_mul_f32_e32 v54, v55, v27
	v_fmac_f32_e32 v54, v22, v24
	v_mul_f32_e32 v22, v23, v4
	v_mul_f32_e32 v23, 0x3fb8aa3b, v22
	v_fma_f32 v24, v22, s7, -v23
	v_rndne_f32_e32 v25, v23
	v_fmac_f32_e32 v24, 0x32a5705f, v22
	v_sub_f32_e32 v23, v23, v25
	v_add_f32_e32 v23, v23, v24
	v_exp_f32_e32 v23, v23
	v_cvt_i32_f32_e32 v24, v25
	v_fmac_f32_e32 v57, v65, v49
	v_cmp_ngt_f32_e64 s[0:1], s24, v22
	s_mov_b32 s4, 0
	v_ldexp_f32 v23, v23, v24
	s_mov_b32 s5, s38
	s_waitcnt lgkmcnt(0)
	v_fmac_f32_e32 v57, v58, v63
	v_cndmask_b32_e64 v23, 0, v23, s[0:1]
	v_cmp_nlt_f32_e64 s[0:1], s27, v22
	v_fmac_f32_e32 v57, v59, v43
	v_cndmask_b32_e64 v22, v56, v23, s[0:1]
	v_mul_f32_e32 v53, v55, v28
	s_ashr_i64 s[2:3], s[4:5], 30
	v_fmac_f32_e32 v57, v60, v54
	v_fmac_f32_e32 v53, v21, v22
	v_add_co_u32_e64 v21, s[0:1], s2, v29
	v_mov_b32_e32 v22, s3
	v_fmac_f32_e32 v57, v61, v53
	v_addc_co_u32_e64 v22, s[0:1], v30, v22, s[0:1]
	global_store_dword v[21:22], v57, off
	s_waitcnt vmcnt(0)
	s_barrier
	s_and_saveexec_b64 s[2:3], vcc
	s_cbranch_execz .LBB9_10
; %bb.9:
	s_lshl_b64 s[0:1], s[18:19], 3
	v_mov_b32_e32 v22, s1
	v_add_co_u32_e64 v21, s[0:1], s0, v35
	v_addc_co_u32_e64 v22, s[0:1], v36, v22, s[0:1]
	s_lshl_b64 s[0:1], s[20:21], 3
	global_load_dword v23, v[21:22], off
	v_mov_b32_e32 v22, s1
	v_add_co_u32_e64 v21, s[0:1], s0, v37
	v_addc_co_u32_e64 v22, s[0:1], v38, v22, s[0:1]
	global_load_dword v21, v[21:22], off
	s_waitcnt vmcnt(1)
	ds_write_b32 v0, v23
	s_waitcnt vmcnt(0)
	ds_write_b32 v41, v21
.LBB9_10:
	s_or_b64 exec, exec, s[2:3]
	v_mov_b32_e32 v21, s29
	v_add_co_u32_e64 v27, s[0:1], s28, v17
	v_addc_co_u32_e64 v28, s[0:1], v18, v21, s[0:1]
	s_waitcnt lgkmcnt(0)
	s_barrier
	global_load_dword v65, v[27:28], off
	s_mov_b32 s0, 0x41a00000
	s_waitcnt vmcnt(0)
	v_cmp_ge_f32_e64 s[0:1], s0, v65
	s_and_saveexec_b64 s[2:3], s[0:1]
	s_cbranch_execz .LBB9_12
; %bb.11:
	v_mul_f32_e32 v17, 0x3fb8aa3b, v65
	s_mov_b32 s0, 0x3fb8aa3b
	v_rndne_f32_e32 v18, v17
	v_sub_f32_e32 v21, v17, v18
	v_fma_f32 v17, v65, s0, -v17
	v_fmac_f32_e32 v17, 0x32a5705f, v65
	v_add_f32_e32 v17, v21, v17
	v_exp_f32_e32 v17, v17
	v_cvt_i32_f32_e32 v18, v18
	s_mov_b32 s0, 0xc2ce8ed0
	v_cmp_ngt_f32_e64 s[0:1], s0, v65
	v_mov_b32_e32 v21, 0x7f800000
	v_ldexp_f32 v17, v17, v18
	v_cndmask_b32_e64 v17, 0, v17, s[0:1]
	s_mov_b32 s0, 0x42b17218
	v_cmp_nlt_f32_e64 s[0:1], s0, v65
	v_cndmask_b32_e64 v22, v21, v17, s[0:1]
	v_add_f32_e32 v23, 1.0, v22
	v_cvt_f64_f32_e32 v[17:18], v23
	v_add_f32_e32 v24, -1.0, v23
	v_sub_f32_e32 v25, v24, v23
	v_sub_f32_e32 v24, v22, v24
	v_frexp_exp_i32_f64_e32 v17, v[17:18]
	v_add_f32_e32 v18, 1.0, v25
	v_add_f32_e32 v18, v24, v18
	v_frexp_mant_f32_e32 v24, v23
	s_mov_b32 s0, 0x3f2aaaab
	v_cmp_gt_f32_e64 s[0:1], s0, v24
	s_mov_b32 s7, 0x7f800000
	v_subbrev_co_u32_e64 v17, s[0:1], 0, v17, s[0:1]
	v_sub_u32_e32 v24, 0, v17
	v_ldexp_f32 v23, v23, v24
	v_ldexp_f32 v18, v18, v24
	v_add_f32_e32 v24, -1.0, v23
	v_add_f32_e32 v55, 1.0, v23
	v_add_f32_e32 v25, 1.0, v24
	v_add_f32_e32 v56, -1.0, v55
	v_sub_f32_e32 v25, v23, v25
	v_sub_f32_e32 v23, v23, v56
	v_add_f32_e32 v25, v18, v25
	v_add_f32_e32 v18, v18, v23
	v_add_f32_e32 v23, v55, v18
	v_rcp_f32_e32 v56, v23
	v_add_f32_e32 v26, v24, v25
	v_sub_f32_e32 v24, v24, v26
	v_add_f32_e32 v24, v25, v24
	v_sub_f32_e32 v25, v55, v23
	v_add_f32_e32 v18, v18, v25
	v_mul_f32_e32 v25, v26, v56
	v_mul_f32_e32 v55, v23, v25
	v_fma_f32 v57, v25, v23, -v55
	v_fmac_f32_e32 v57, v25, v18
	v_add_f32_e32 v58, v55, v57
	v_sub_f32_e32 v59, v26, v58
	v_sub_f32_e32 v26, v26, v59
	;; [unrolled: 1-line block ×4, first 2 shown]
	v_add_f32_e32 v24, v24, v26
	v_sub_f32_e32 v26, v55, v57
	v_add_f32_e32 v24, v26, v24
	v_add_f32_e32 v26, v59, v24
	v_mul_f32_e32 v55, v56, v26
	v_mul_f32_e32 v57, v23, v55
	v_fma_f32 v23, v55, v23, -v57
	v_fmac_f32_e32 v23, v55, v18
	v_sub_f32_e32 v18, v59, v26
	v_add_f32_e32 v18, v24, v18
	v_add_f32_e32 v24, v57, v23
	v_sub_f32_e32 v58, v26, v24
	v_sub_f32_e32 v26, v26, v58
	v_sub_f32_e32 v57, v24, v57
	v_sub_f32_e32 v24, v26, v24
	v_add_f32_e32 v18, v18, v24
	v_sub_f32_e32 v23, v57, v23
	v_add_f32_e32 v18, v23, v18
	v_add_f32_e32 v23, v25, v55
	;; [unrolled: 1-line block ×3, first 2 shown]
	v_sub_f32_e32 v24, v23, v25
	v_mul_f32_e32 v18, v56, v18
	v_sub_f32_e32 v24, v55, v24
	v_add_f32_e32 v18, v24, v18
	v_cvt_f32_i32_e32 v17, v17
	v_add_f32_e32 v24, v23, v18
	v_mul_f32_e32 v25, v24, v24
	v_mov_b32_e32 v26, 0x3ecc95a3
	v_fmac_f32_e32 v26, 0x3e9b6dac, v25
	v_mov_b32_e32 v55, 0x3f2aaada
	v_fmac_f32_e32 v55, v25, v26
	s_mov_b32 s0, 0x3f317218
	v_mul_f32_e32 v26, 0x3f317218, v17
	v_fma_f32 v56, v17, s0, -v26
	v_fmac_f32_e32 v56, 0xb102e308, v17
	v_sub_f32_e32 v17, v24, v23
	v_sub_f32_e32 v17, v18, v17
	v_add_f32_e32 v18, v26, v56
	v_sub_f32_e32 v23, v18, v26
	v_ldexp_f32 v26, v24, 1
	v_mul_f32_e32 v24, v24, v25
	v_mul_f32_e32 v24, v24, v55
	v_add_f32_e32 v25, v26, v24
	v_sub_f32_e32 v26, v25, v26
	v_ldexp_f32 v17, v17, 1
	v_sub_f32_e32 v24, v24, v26
	v_add_f32_e32 v17, v17, v24
	v_add_f32_e32 v24, v25, v17
	v_sub_f32_e32 v25, v24, v25
	v_sub_f32_e32 v17, v17, v25
	v_add_f32_e32 v25, v18, v24
	v_sub_f32_e32 v26, v25, v18
	v_sub_f32_e32 v55, v25, v26
	;; [unrolled: 1-line block ×5, first 2 shown]
	v_add_f32_e32 v18, v24, v18
	v_add_f32_e32 v24, v23, v17
	v_sub_f32_e32 v26, v24, v23
	v_sub_f32_e32 v55, v24, v26
	;; [unrolled: 1-line block ×4, first 2 shown]
	v_add_f32_e32 v18, v24, v18
	v_add_f32_e32 v17, v17, v23
	;; [unrolled: 1-line block ×3, first 2 shown]
	v_sub_f32_e32 v24, v23, v25
	v_sub_f32_e32 v18, v18, v24
	v_add_f32_e32 v17, v17, v18
	v_add_f32_e32 v17, v23, v17
	v_cmp_neq_f32_e64 s[0:1], s7, v22
	v_cndmask_b32_e64 v17, v21, v17, s[0:1]
	s_mov_b32 s0, 0x33800000
	v_cmp_gt_f32_e64 s[0:1], s0, v22
	v_cndmask_b32_e64 v65, v17, v22, s[0:1]
.LBB9_12:
	s_or_b64 exec, exec, s[2:3]
	v_add_co_u32_e64 v25, s[0:1], s30, v19
	v_mov_b32_e32 v17, s31
	v_addc_co_u32_e64 v26, s[0:1], v20, v17, s[0:1]
	global_load_dword v17, v[25:26], off
	s_mov_b32 s2, 0x3fb8aa3b
	s_mov_b32 s3, 0xc2ce8ed0
	;; [unrolled: 1-line block ×3, first 2 shown]
	v_mov_b32_e32 v68, 0x7f800000
	v_mov_b32_e32 v64, 0
	s_waitcnt vmcnt(0)
	v_mul_f32_e32 v66, v65, v17
	v_mul_f32_e32 v17, v65, v13
	;; [unrolled: 1-line block ×3, first 2 shown]
	v_fma_f32 v19, v17, s2, -v18
	v_rndne_f32_e32 v20, v18
	v_fmac_f32_e32 v19, 0x32a5705f, v17
	v_sub_f32_e32 v18, v18, v20
	v_add_f32_e32 v18, v18, v19
	v_exp_f32_e32 v18, v18
	v_cvt_i32_f32_e32 v19, v20
	v_cmp_ngt_f32_e64 s[0:1], s3, v17
	v_ldexp_f32 v18, v18, v19
	v_cndmask_b32_e64 v18, 0, v18, s[0:1]
	v_cmp_nlt_f32_e64 s[0:1], s7, v17
	v_cndmask_b32_e64 v67, v68, v18, s[0:1]
	ds_read_b128 v[55:58], v64
	ds_read_b128 v[59:62], v64 offset:16
	ds_read_b128 v[21:24], v64 offset:32
	;; [unrolled: 1-line block ×4, first 2 shown]
	s_waitcnt lgkmcnt(4)
	v_mul_f32_e32 v55, v66, v55
	v_fmac_f32_e32 v55, v46, v67
	v_mul_f32_e32 v46, v65, v14
	v_cmp_ngt_f32_e64 s[0:1], s3, v46
	s_waitcnt lgkmcnt(0)
	v_fma_f32 v67, v69, v55, 0
	v_mul_f32_e32 v69, 0x3fb8aa3b, v46
	v_fma_f32 v73, v46, s2, -v69
	v_rndne_f32_e32 v74, v69
	v_fmac_f32_e32 v73, 0x32a5705f, v46
	v_sub_f32_e32 v69, v69, v74
	v_add_f32_e32 v69, v69, v73
	v_exp_f32_e32 v69, v69
	v_cvt_i32_f32_e32 v73, v74
	v_ldexp_f32 v69, v69, v73
	v_cndmask_b32_e64 v69, 0, v69, s[0:1]
	v_cmp_nlt_f32_e64 s[0:1], s7, v46
	v_cndmask_b32_e64 v69, v68, v69, s[0:1]
	v_mul_f32_e32 v46, v66, v56
	v_fmac_f32_e32 v46, v45, v69
	v_mul_f32_e32 v45, v65, v15
	v_mul_f32_e32 v56, 0x3fb8aa3b, v45
	v_fmac_f32_e32 v67, v70, v46
	v_fma_f32 v69, v45, s2, -v56
	v_rndne_f32_e32 v70, v56
	v_fmac_f32_e32 v69, 0x32a5705f, v45
	v_sub_f32_e32 v56, v56, v70
	v_add_f32_e32 v56, v56, v69
	v_exp_f32_e32 v56, v56
	v_cvt_i32_f32_e32 v69, v70
	v_cmp_ngt_f32_e64 s[0:1], s3, v45
	v_ldexp_f32 v56, v56, v69
	v_cndmask_b32_e64 v56, 0, v56, s[0:1]
	v_cmp_nlt_f32_e64 s[0:1], s7, v45
	v_cndmask_b32_e64 v56, v68, v56, s[0:1]
	v_mul_f32_e32 v45, v66, v57
	v_fmac_f32_e32 v45, v44, v56
	v_mul_f32_e32 v44, v65, v16
	v_mul_f32_e32 v56, 0x3fb8aa3b, v44
	v_fma_f32 v57, v44, s2, -v56
	v_rndne_f32_e32 v69, v56
	v_fmac_f32_e32 v57, 0x32a5705f, v44
	v_sub_f32_e32 v56, v56, v69
	v_add_f32_e32 v56, v56, v57
	v_exp_f32_e32 v56, v56
	v_cvt_i32_f32_e32 v57, v69
	v_cmp_ngt_f32_e64 s[0:1], s3, v44
	v_fmac_f32_e32 v67, v71, v45
	v_ldexp_f32 v56, v56, v57
	v_cndmask_b32_e64 v56, 0, v56, s[0:1]
	v_cmp_nlt_f32_e64 s[0:1], s7, v44
	v_cndmask_b32_e64 v44, v68, v56, s[0:1]
	v_mul_f32_e32 v56, v66, v58
	v_fmac_f32_e32 v56, v42, v44
	v_mul_f32_e32 v42, v65, v9
	v_mul_f32_e32 v44, 0x3fb8aa3b, v42
	v_fma_f32 v57, v42, s2, -v44
	v_rndne_f32_e32 v58, v44
	v_fmac_f32_e32 v57, 0x32a5705f, v42
	v_sub_f32_e32 v44, v44, v58
	v_add_f32_e32 v44, v44, v57
	v_exp_f32_e32 v44, v44
	v_cvt_i32_f32_e32 v57, v58
	v_cmp_ngt_f32_e64 s[0:1], s3, v42
	v_fmac_f32_e32 v67, v72, v56
	ds_read_b128 v[69:72], v64 offset:80
	v_ldexp_f32 v44, v44, v57
	v_cndmask_b32_e64 v44, 0, v44, s[0:1]
	v_cmp_nlt_f32_e64 s[0:1], s7, v42
	v_cndmask_b32_e64 v42, v68, v44, s[0:1]
	v_mul_f32_e32 v57, v66, v59
	v_fmac_f32_e32 v57, v47, v42
	v_mul_f32_e32 v42, v65, v10
	v_mul_f32_e32 v44, 0x3fb8aa3b, v42
	v_fma_f32 v47, v42, s2, -v44
	v_rndne_f32_e32 v58, v44
	v_fmac_f32_e32 v47, 0x32a5705f, v42
	v_sub_f32_e32 v44, v44, v58
	v_add_f32_e32 v44, v44, v47
	v_exp_f32_e32 v44, v44
	v_cvt_i32_f32_e32 v47, v58
	v_cmp_ngt_f32_e64 s[0:1], s3, v42
	v_mul_f32_e32 v59, v66, v21
	v_mul_f32_e32 v21, v65, v6
	v_ldexp_f32 v44, v44, v47
	v_cndmask_b32_e64 v44, 0, v44, s[0:1]
	v_cmp_nlt_f32_e64 s[0:1], s7, v42
	v_cndmask_b32_e64 v42, v68, v44, s[0:1]
	v_mul_f32_e32 v47, v66, v60
	v_fmac_f32_e32 v47, v32, v42
	v_mul_f32_e32 v32, v65, v11
	v_mul_f32_e32 v42, 0x3fb8aa3b, v32
	v_fma_f32 v44, v32, s2, -v42
	v_rndne_f32_e32 v58, v42
	v_fmac_f32_e32 v44, 0x32a5705f, v32
	v_sub_f32_e32 v42, v42, v58
	v_add_f32_e32 v42, v42, v44
	v_exp_f32_e32 v42, v42
	v_cvt_i32_f32_e32 v44, v58
	v_cmp_ngt_f32_e64 s[0:1], s3, v32
	v_mul_f32_e32 v58, v66, v61
	v_mul_f32_e32 v60, v66, v23
	v_ldexp_f32 v42, v42, v44
	v_cndmask_b32_e64 v42, 0, v42, s[0:1]
	v_cmp_nlt_f32_e64 s[0:1], s7, v32
	v_cndmask_b32_e64 v32, v68, v42, s[0:1]
	v_fmac_f32_e32 v58, v31, v32
	v_mul_f32_e32 v31, v65, v12
	v_mul_f32_e32 v32, 0x3fb8aa3b, v31
	v_fma_f32 v42, v31, s2, -v32
	v_rndne_f32_e32 v44, v32
	v_fmac_f32_e32 v42, 0x32a5705f, v31
	v_sub_f32_e32 v32, v32, v44
	v_add_f32_e32 v32, v32, v42
	v_exp_f32_e32 v32, v32
	v_cvt_i32_f32_e32 v42, v44
	v_cmp_ngt_f32_e64 s[0:1], s3, v31
	v_mul_f32_e32 v61, v66, v24
	v_ldexp_f32 v32, v32, v42
	v_cndmask_b32_e64 v32, 0, v32, s[0:1]
	v_cmp_nlt_f32_e64 s[0:1], s7, v31
	v_cndmask_b32_e64 v32, v68, v32, s[0:1]
	v_mul_f32_e32 v31, v66, v62
	v_fmac_f32_e32 v31, v48, v32
	v_mul_f32_e32 v32, v65, v5
	v_mul_f32_e32 v42, 0x3fb8aa3b, v32
	v_fma_f32 v44, v32, s2, -v42
	v_rndne_f32_e32 v48, v42
	v_fmac_f32_e32 v44, 0x32a5705f, v32
	v_sub_f32_e32 v42, v42, v48
	v_add_f32_e32 v42, v42, v44
	v_exp_f32_e32 v42, v42
	v_cvt_i32_f32_e32 v44, v48
	v_cmp_ngt_f32_e64 s[0:1], s3, v32
	v_mul_f32_e32 v62, v66, v17
	v_mul_f32_e32 v17, v65, v2
	v_ldexp_f32 v42, v42, v44
	v_cndmask_b32_e64 v42, 0, v42, s[0:1]
	v_cmp_nlt_f32_e64 s[0:1], s7, v32
	v_cndmask_b32_e64 v32, v68, v42, s[0:1]
	v_fmac_f32_e32 v59, v52, v32
	v_mul_f32_e32 v32, 0x3fb8aa3b, v21
	v_fma_f32 v42, v21, s2, -v32
	v_rndne_f32_e32 v44, v32
	v_fmac_f32_e32 v42, 0x32a5705f, v21
	v_sub_f32_e32 v32, v32, v44
	v_add_f32_e32 v32, v32, v42
	v_exp_f32_e32 v32, v32
	v_cvt_i32_f32_e32 v42, v44
	v_cmp_ngt_f32_e64 s[0:1], s3, v21
	v_mul_f32_e32 v52, v66, v22
	v_ldexp_f32 v32, v32, v42
	v_cndmask_b32_e64 v32, 0, v32, s[0:1]
	v_cmp_nlt_f32_e64 s[0:1], s7, v21
	v_cndmask_b32_e64 v21, v68, v32, s[0:1]
	v_fmac_f32_e32 v52, v51, v21
	v_mul_f32_e32 v21, v65, v7
	v_mul_f32_e32 v22, 0x3fb8aa3b, v21
	v_fma_f32 v32, v21, s2, -v22
	v_rndne_f32_e32 v42, v22
	v_fmac_f32_e32 v32, 0x32a5705f, v21
	v_sub_f32_e32 v22, v22, v42
	v_add_f32_e32 v22, v22, v32
	v_exp_f32_e32 v22, v22
	v_cvt_i32_f32_e32 v32, v42
	v_cmp_ngt_f32_e64 s[0:1], s3, v21
	v_ldexp_f32 v22, v22, v32
	v_cndmask_b32_e64 v22, 0, v22, s[0:1]
	v_cmp_nlt_f32_e64 s[0:1], s7, v21
	v_cndmask_b32_e64 v21, v68, v22, s[0:1]
	v_fmac_f32_e32 v60, v50, v21
	v_mul_f32_e32 v21, v65, v8
	v_mul_f32_e32 v22, 0x3fb8aa3b, v21
	v_fma_f32 v23, v21, s2, -v22
	v_rndne_f32_e32 v32, v22
	v_fmac_f32_e32 v23, 0x32a5705f, v21
	v_sub_f32_e32 v22, v22, v32
	v_add_f32_e32 v22, v22, v23
	v_exp_f32_e32 v22, v22
	v_cvt_i32_f32_e32 v23, v32
	v_cmp_ngt_f32_e64 s[0:1], s3, v21
	;; [unrolled: 15-line block ×3, first 2 shown]
	v_ldexp_f32 v22, v22, v23
	v_cndmask_b32_e64 v22, 0, v22, s[0:1]
	v_cmp_nlt_f32_e64 s[0:1], s7, v21
	v_cndmask_b32_e64 v21, v68, v22, s[0:1]
	v_fmac_f32_e32 v62, v63, v21
	ds_read_b128 v[21:24], v64 offset:112
	s_waitcnt lgkmcnt(1)
	v_fmac_f32_e32 v67, v69, v57
	v_fmac_f32_e32 v67, v70, v47
	;; [unrolled: 1-line block ×4, first 2 shown]
	ds_read_b128 v[69:72], v64 offset:96
	v_cmp_ngt_f32_e64 s[0:1], s3, v17
	v_mul_f32_e32 v63, v66, v18
	v_mul_f32_e32 v64, v66, v19
	s_waitcnt lgkmcnt(0)
	v_fmac_f32_e32 v67, v69, v59
	v_fmac_f32_e32 v67, v70, v52
	;; [unrolled: 1-line block ×5, first 2 shown]
	v_mul_f32_e32 v21, 0x3fb8aa3b, v17
	v_fma_f32 v32, v17, s2, -v21
	v_rndne_f32_e32 v42, v21
	v_fmac_f32_e32 v32, 0x32a5705f, v17
	v_sub_f32_e32 v21, v21, v42
	v_add_f32_e32 v21, v21, v32
	v_exp_f32_e32 v21, v21
	v_cvt_i32_f32_e32 v32, v42
	v_ldexp_f32 v21, v21, v32
	v_cndmask_b32_e64 v21, 0, v21, s[0:1]
	v_cmp_nlt_f32_e64 s[0:1], s7, v17
	v_cndmask_b32_e64 v17, v68, v21, s[0:1]
	v_fmac_f32_e32 v63, v43, v17
	v_mul_f32_e32 v17, v65, v3
	v_mul_f32_e32 v18, 0x3fb8aa3b, v17
	v_fmac_f32_e32 v67, v22, v63
	v_fma_f32 v21, v17, s2, -v18
	v_rndne_f32_e32 v22, v18
	v_fmac_f32_e32 v21, 0x32a5705f, v17
	v_sub_f32_e32 v18, v18, v22
	v_add_f32_e32 v18, v18, v21
	v_exp_f32_e32 v18, v18
	v_cvt_i32_f32_e32 v21, v22
	v_cmp_ngt_f32_e64 s[0:1], s3, v17
	v_ldexp_f32 v18, v18, v21
	v_cndmask_b32_e64 v18, 0, v18, s[0:1]
	v_cmp_nlt_f32_e64 s[0:1], s7, v17
	v_cndmask_b32_e64 v17, v68, v18, s[0:1]
	v_fmac_f32_e32 v64, v54, v17
	v_mul_f32_e32 v17, v65, v4
	v_mul_f32_e32 v18, 0x3fb8aa3b, v17
	v_fma_f32 v19, v17, s2, -v18
	v_rndne_f32_e32 v21, v18
	v_fmac_f32_e32 v19, 0x32a5705f, v17
	v_sub_f32_e32 v18, v18, v21
	v_add_f32_e32 v18, v18, v19
	v_exp_f32_e32 v18, v18
	v_cvt_i32_f32_e32 v19, v21
	v_cmp_ngt_f32_e64 s[0:1], s3, v17
	v_mul_f32_e32 v65, v66, v20
	s_ashr_i64 s[2:3], s[4:5], 29
	v_ldexp_f32 v18, v18, v19
	v_cndmask_b32_e64 v18, 0, v18, s[0:1]
	v_cmp_nlt_f32_e64 s[0:1], s7, v17
	v_cndmask_b32_e64 v17, v68, v18, s[0:1]
	v_fmac_f32_e32 v67, v23, v64
	v_fmac_f32_e32 v65, v53, v17
	v_add_co_u32_e64 v17, s[0:1], s2, v29
	v_mov_b32_e32 v18, s3
	v_fmac_f32_e32 v67, v24, v65
	v_addc_co_u32_e64 v18, s[0:1], v30, v18, s[0:1]
	global_store_dword v[17:18], v67, off
	s_waitcnt vmcnt(0)
	s_barrier
	s_and_saveexec_b64 s[0:1], vcc
	s_cbranch_execz .LBB9_14
; %bb.13:
	v_mad_i64_i32 v[17:18], s[2:3], s18, 12, v[35:36]
	v_mad_i64_i32 v[19:20], s[2:3], s20, 12, v[37:38]
	global_load_dword v21, v[17:18], off
	global_load_dword v22, v[19:20], off
	s_waitcnt vmcnt(1)
	ds_write_b32 v0, v21
	s_waitcnt vmcnt(0)
	ds_write_b32 v41, v22
.LBB9_14:
	s_or_b64 exec, exec, s[0:1]
	v_mov_b32_e32 v17, s29
	v_add_co_u32_e64 v27, s[0:1], s28, v27
	v_addc_co_u32_e64 v28, s[0:1], v28, v17, s[0:1]
	s_waitcnt lgkmcnt(0)
	s_barrier
	global_load_dword v66, v[27:28], off
	s_mov_b32 s0, 0x41a00000
	s_bfe_i64 s[2:3], s[38:39], 0x200000
	s_waitcnt vmcnt(0)
	v_cmp_ge_f32_e64 s[0:1], s0, v66
	s_and_saveexec_b64 s[8:9], s[0:1]
	s_cbranch_execz .LBB9_16
; %bb.15:
	v_mul_f32_e32 v17, 0x3fb8aa3b, v66
	s_mov_b32 s0, 0x3fb8aa3b
	v_rndne_f32_e32 v18, v17
	v_sub_f32_e32 v19, v17, v18
	v_fma_f32 v17, v66, s0, -v17
	v_fmac_f32_e32 v17, 0x32a5705f, v66
	v_add_f32_e32 v17, v19, v17
	v_exp_f32_e32 v17, v17
	v_cvt_i32_f32_e32 v18, v18
	s_mov_b32 s0, 0xc2ce8ed0
	v_cmp_ngt_f32_e64 s[0:1], s0, v66
	v_mov_b32_e32 v19, 0x7f800000
	v_ldexp_f32 v17, v17, v18
	v_cndmask_b32_e64 v17, 0, v17, s[0:1]
	s_mov_b32 s0, 0x42b17218
	v_cmp_nlt_f32_e64 s[0:1], s0, v66
	v_cndmask_b32_e64 v20, v19, v17, s[0:1]
	v_add_f32_e32 v21, 1.0, v20
	v_cvt_f64_f32_e32 v[17:18], v21
	v_add_f32_e32 v22, -1.0, v21
	v_sub_f32_e32 v23, v22, v21
	v_sub_f32_e32 v22, v20, v22
	v_frexp_exp_i32_f64_e32 v17, v[17:18]
	v_add_f32_e32 v18, 1.0, v23
	v_add_f32_e32 v18, v22, v18
	v_frexp_mant_f32_e32 v22, v21
	s_mov_b32 s0, 0x3f2aaaab
	v_cmp_gt_f32_e64 s[0:1], s0, v22
	s_mov_b32 s7, 0x7f800000
	v_subbrev_co_u32_e64 v17, s[0:1], 0, v17, s[0:1]
	v_sub_u32_e32 v22, 0, v17
	v_ldexp_f32 v21, v21, v22
	v_ldexp_f32 v18, v18, v22
	v_add_f32_e32 v22, -1.0, v21
	v_add_f32_e32 v32, 1.0, v21
	v_add_f32_e32 v23, 1.0, v22
	v_add_f32_e32 v42, -1.0, v32
	v_sub_f32_e32 v23, v21, v23
	v_sub_f32_e32 v21, v21, v42
	v_add_f32_e32 v23, v18, v23
	v_add_f32_e32 v18, v18, v21
	;; [unrolled: 1-line block ×3, first 2 shown]
	v_rcp_f32_e32 v42, v21
	v_add_f32_e32 v24, v22, v23
	v_sub_f32_e32 v22, v22, v24
	v_add_f32_e32 v22, v23, v22
	v_sub_f32_e32 v23, v32, v21
	v_add_f32_e32 v18, v18, v23
	v_mul_f32_e32 v23, v24, v42
	v_mul_f32_e32 v32, v21, v23
	v_fma_f32 v43, v23, v21, -v32
	v_fmac_f32_e32 v43, v23, v18
	v_add_f32_e32 v44, v32, v43
	v_sub_f32_e32 v48, v24, v44
	v_sub_f32_e32 v24, v24, v48
	;; [unrolled: 1-line block ×4, first 2 shown]
	v_add_f32_e32 v22, v22, v24
	v_sub_f32_e32 v24, v32, v43
	v_add_f32_e32 v22, v24, v22
	v_add_f32_e32 v24, v48, v22
	v_mul_f32_e32 v32, v42, v24
	v_mul_f32_e32 v43, v21, v32
	v_fma_f32 v21, v32, v21, -v43
	v_fmac_f32_e32 v21, v32, v18
	v_sub_f32_e32 v18, v48, v24
	v_add_f32_e32 v18, v22, v18
	v_add_f32_e32 v22, v43, v21
	v_sub_f32_e32 v44, v24, v22
	v_sub_f32_e32 v24, v24, v44
	;; [unrolled: 1-line block ×4, first 2 shown]
	v_add_f32_e32 v18, v18, v22
	v_sub_f32_e32 v21, v43, v21
	v_add_f32_e32 v18, v21, v18
	v_add_f32_e32 v21, v23, v32
	;; [unrolled: 1-line block ×3, first 2 shown]
	v_sub_f32_e32 v22, v21, v23
	v_mul_f32_e32 v18, v42, v18
	v_sub_f32_e32 v22, v32, v22
	v_add_f32_e32 v18, v22, v18
	v_cvt_f32_i32_e32 v17, v17
	v_add_f32_e32 v22, v21, v18
	v_mul_f32_e32 v23, v22, v22
	v_mov_b32_e32 v24, 0x3ecc95a3
	v_fmac_f32_e32 v24, 0x3e9b6dac, v23
	v_mov_b32_e32 v32, 0x3f2aaada
	v_fmac_f32_e32 v32, v23, v24
	s_mov_b32 s0, 0x3f317218
	v_mul_f32_e32 v24, 0x3f317218, v17
	v_fma_f32 v42, v17, s0, -v24
	v_fmac_f32_e32 v42, 0xb102e308, v17
	v_sub_f32_e32 v17, v22, v21
	v_sub_f32_e32 v17, v18, v17
	v_add_f32_e32 v18, v24, v42
	v_sub_f32_e32 v21, v18, v24
	v_ldexp_f32 v24, v22, 1
	v_mul_f32_e32 v22, v22, v23
	v_mul_f32_e32 v22, v22, v32
	v_add_f32_e32 v23, v24, v22
	v_sub_f32_e32 v24, v23, v24
	v_ldexp_f32 v17, v17, 1
	v_sub_f32_e32 v22, v22, v24
	v_add_f32_e32 v17, v17, v22
	v_add_f32_e32 v22, v23, v17
	v_sub_f32_e32 v23, v22, v23
	v_sub_f32_e32 v17, v17, v23
	v_add_f32_e32 v23, v18, v22
	v_sub_f32_e32 v24, v23, v18
	v_sub_f32_e32 v32, v23, v24
	;; [unrolled: 1-line block ×5, first 2 shown]
	v_add_f32_e32 v18, v22, v18
	v_add_f32_e32 v22, v21, v17
	v_sub_f32_e32 v24, v22, v21
	v_sub_f32_e32 v32, v22, v24
	;; [unrolled: 1-line block ×4, first 2 shown]
	v_add_f32_e32 v18, v22, v18
	v_add_f32_e32 v17, v17, v21
	;; [unrolled: 1-line block ×3, first 2 shown]
	v_sub_f32_e32 v22, v21, v23
	v_sub_f32_e32 v18, v18, v22
	v_add_f32_e32 v17, v17, v18
	v_add_f32_e32 v17, v21, v17
	v_cmp_neq_f32_e64 s[0:1], s7, v20
	v_cndmask_b32_e64 v17, v19, v17, s[0:1]
	s_mov_b32 s0, 0x33800000
	v_cmp_gt_f32_e64 s[0:1], s0, v20
	v_cndmask_b32_e64 v66, v17, v20, s[0:1]
.LBB9_16:
	s_or_b64 exec, exec, s[8:9]
	v_add_co_u32_e64 v25, s[0:1], s30, v25
	v_mov_b32_e32 v17, s31
	v_addc_co_u32_e64 v26, s[0:1], v26, v17, s[0:1]
	global_load_dword v17, v[25:26], off
	s_mov_b32 s7, 0x3fb8aa3b
	s_mov_b32 s8, 0xc2ce8ed0
	;; [unrolled: 1-line block ×3, first 2 shown]
	v_mov_b32_e32 v69, 0x7f800000
	v_mov_b32_e32 v54, 0
	s_waitcnt vmcnt(0)
	v_mul_f32_e32 v67, v66, v17
	v_mul_f32_e32 v17, v66, v13
	;; [unrolled: 1-line block ×3, first 2 shown]
	v_fma_f32 v19, v17, s7, -v18
	v_rndne_f32_e32 v20, v18
	v_fmac_f32_e32 v19, 0x32a5705f, v17
	v_sub_f32_e32 v18, v18, v20
	v_add_f32_e32 v18, v18, v19
	v_exp_f32_e32 v18, v18
	v_cvt_i32_f32_e32 v19, v20
	v_cmp_ngt_f32_e64 s[0:1], s8, v17
	v_ldexp_f32 v18, v18, v19
	v_cndmask_b32_e64 v18, 0, v18, s[0:1]
	v_cmp_nlt_f32_e64 s[0:1], s9, v17
	v_cndmask_b32_e64 v42, v69, v18, s[0:1]
	ds_read_b128 v[48:51], v54
	ds_read_b128 v[70:73], v54 offset:16
	ds_read_b128 v[21:24], v54 offset:32
	;; [unrolled: 1-line block ×4, first 2 shown]
	s_waitcnt lgkmcnt(4)
	v_mul_f32_e32 v32, v67, v48
	v_fmac_f32_e32 v32, v55, v42
	v_mul_f32_e32 v42, v66, v14
	v_mul_f32_e32 v43, 0x3fb8aa3b, v42
	v_fma_f32 v44, v42, s7, -v43
	v_rndne_f32_e32 v48, v43
	v_fmac_f32_e32 v44, 0x32a5705f, v42
	v_sub_f32_e32 v43, v43, v48
	v_add_f32_e32 v43, v43, v44
	v_exp_f32_e32 v43, v43
	v_cvt_i32_f32_e32 v44, v48
	v_cmp_ngt_f32_e64 s[0:1], s8, v42
	v_ldexp_f32 v43, v43, v44
	v_cndmask_b32_e64 v43, 0, v43, s[0:1]
	v_cmp_nlt_f32_e64 s[0:1], s9, v42
	v_cndmask_b32_e64 v43, v69, v43, s[0:1]
	v_mul_f32_e32 v42, v67, v49
	v_fmac_f32_e32 v42, v46, v43
	v_mul_f32_e32 v43, v66, v15
	v_mul_f32_e32 v44, 0x3fb8aa3b, v43
	v_fma_f32 v46, v43, s7, -v44
	v_rndne_f32_e32 v48, v44
	v_fmac_f32_e32 v46, 0x32a5705f, v43
	v_sub_f32_e32 v44, v44, v48
	v_add_f32_e32 v44, v44, v46
	v_exp_f32_e32 v44, v44
	v_cvt_i32_f32_e32 v46, v48
	v_cmp_ngt_f32_e64 s[0:1], s8, v43
	v_ldexp_f32 v44, v44, v46
	v_cndmask_b32_e64 v44, 0, v44, s[0:1]
	v_cmp_nlt_f32_e64 s[0:1], s9, v43
	v_cndmask_b32_e64 v44, v69, v44, s[0:1]
	;; [unrolled: 16-line block ×3, first 2 shown]
	v_mul_f32_e32 v44, v67, v51
	v_fmac_f32_e32 v44, v56, v45
	v_mul_f32_e32 v45, v66, v9
	v_mul_f32_e32 v46, 0x3fb8aa3b, v45
	v_fma_f32 v48, v45, s7, -v46
	v_rndne_f32_e32 v49, v46
	v_fmac_f32_e32 v48, 0x32a5705f, v45
	v_sub_f32_e32 v46, v46, v49
	v_add_f32_e32 v46, v46, v48
	v_exp_f32_e32 v46, v46
	v_cvt_i32_f32_e32 v48, v49
	v_cmp_ngt_f32_e64 s[0:1], s8, v45
	v_ldexp_f32 v46, v46, v48
	ds_read_b128 v[48:51], v54 offset:80
	s_waitcnt lgkmcnt(1)
	v_fma_f32 v68, v74, v32, 0
	v_fmac_f32_e32 v68, v75, v42
	v_cndmask_b32_e64 v46, 0, v46, s[0:1]
	v_cmp_nlt_f32_e64 s[0:1], s9, v45
	v_fmac_f32_e32 v68, v76, v43
	v_cndmask_b32_e64 v46, v69, v46, s[0:1]
	v_mul_f32_e32 v45, v67, v70
	v_fmac_f32_e32 v68, v77, v44
	v_fmac_f32_e32 v45, v57, v46
	v_mul_f32_e32 v46, v66, v10
	s_waitcnt lgkmcnt(0)
	v_fmac_f32_e32 v68, v48, v45
	v_mul_f32_e32 v48, 0x3fb8aa3b, v46
	v_fma_f32 v53, v46, s7, -v48
	v_rndne_f32_e32 v55, v48
	v_fmac_f32_e32 v53, 0x32a5705f, v46
	v_sub_f32_e32 v48, v48, v55
	v_add_f32_e32 v48, v48, v53
	v_exp_f32_e32 v48, v48
	v_cvt_i32_f32_e32 v53, v55
	v_cmp_ngt_f32_e64 s[0:1], s8, v46
	v_ldexp_f32 v48, v48, v53
	v_cndmask_b32_e64 v48, 0, v48, s[0:1]
	v_cmp_nlt_f32_e64 s[0:1], s9, v46
	v_cndmask_b32_e64 v48, v69, v48, s[0:1]
	v_mul_f32_e32 v46, v67, v71
	v_fmac_f32_e32 v46, v47, v48
	v_mul_f32_e32 v47, v66, v11
	v_mul_f32_e32 v48, 0x3fb8aa3b, v47
	v_fmac_f32_e32 v68, v49, v46
	v_fma_f32 v49, v47, s7, -v48
	v_rndne_f32_e32 v53, v48
	v_fmac_f32_e32 v49, 0x32a5705f, v47
	v_sub_f32_e32 v48, v48, v53
	v_add_f32_e32 v48, v48, v49
	v_exp_f32_e32 v48, v48
	v_cvt_i32_f32_e32 v49, v53
	v_cmp_ngt_f32_e64 s[0:1], s8, v47
	v_ldexp_f32 v48, v48, v49
	v_cndmask_b32_e64 v48, 0, v48, s[0:1]
	v_cmp_nlt_f32_e64 s[0:1], s9, v47
	v_cndmask_b32_e64 v48, v69, v48, s[0:1]
	v_mul_f32_e32 v47, v67, v72
	v_fmac_f32_e32 v47, v58, v48
	v_mul_f32_e32 v48, v66, v12
	v_mul_f32_e32 v49, 0x3fb8aa3b, v48
	v_fmac_f32_e32 v68, v50, v47
	v_fma_f32 v50, v48, s7, -v49
	v_rndne_f32_e32 v53, v49
	v_fmac_f32_e32 v50, 0x32a5705f, v48
	v_sub_f32_e32 v49, v49, v53
	v_add_f32_e32 v49, v49, v50
	v_exp_f32_e32 v49, v49
	v_cvt_i32_f32_e32 v50, v53
	v_cmp_ngt_f32_e64 s[0:1], s8, v48
	ds_read_b128 v[55:58], v54 offset:96
	v_mul_f32_e32 v53, v67, v17
	v_ldexp_f32 v49, v49, v50
	v_cndmask_b32_e64 v49, 0, v49, s[0:1]
	v_cmp_nlt_f32_e64 s[0:1], s9, v48
	v_cndmask_b32_e64 v49, v69, v49, s[0:1]
	v_mul_f32_e32 v48, v67, v73
	v_fmac_f32_e32 v48, v31, v49
	v_mul_f32_e32 v31, v66, v5
	v_mul_f32_e32 v49, 0x3fb8aa3b, v31
	v_fmac_f32_e32 v68, v51, v48
	v_fma_f32 v50, v31, s7, -v49
	v_rndne_f32_e32 v51, v49
	v_fmac_f32_e32 v50, 0x32a5705f, v31
	v_sub_f32_e32 v49, v49, v51
	v_add_f32_e32 v49, v49, v50
	v_exp_f32_e32 v49, v49
	v_cvt_i32_f32_e32 v50, v51
	v_cmp_ngt_f32_e64 s[0:1], s8, v31
	v_mul_f32_e32 v17, v66, v2
	v_ldexp_f32 v49, v49, v50
	v_cndmask_b32_e64 v49, 0, v49, s[0:1]
	v_cmp_nlt_f32_e64 s[0:1], s9, v31
	v_cndmask_b32_e64 v31, v69, v49, s[0:1]
	v_mul_f32_e32 v49, v67, v21
	v_mul_f32_e32 v21, v66, v6
	v_fmac_f32_e32 v49, v59, v31
	v_mul_f32_e32 v31, 0x3fb8aa3b, v21
	v_fma_f32 v50, v21, s7, -v31
	v_rndne_f32_e32 v51, v31
	v_fmac_f32_e32 v50, 0x32a5705f, v21
	v_sub_f32_e32 v31, v31, v51
	v_add_f32_e32 v31, v31, v50
	v_exp_f32_e32 v31, v31
	v_cvt_i32_f32_e32 v50, v51
	v_cmp_ngt_f32_e64 s[0:1], s8, v21
	v_ldexp_f32 v31, v31, v50
	v_cndmask_b32_e64 v31, 0, v31, s[0:1]
	v_cmp_nlt_f32_e64 s[0:1], s9, v21
	v_cndmask_b32_e64 v21, v69, v31, s[0:1]
	v_mul_f32_e32 v50, v67, v22
	v_fmac_f32_e32 v50, v52, v21
	v_mul_f32_e32 v21, v66, v7
	v_mul_f32_e32 v22, 0x3fb8aa3b, v21
	v_fma_f32 v31, v21, s7, -v22
	v_rndne_f32_e32 v51, v22
	v_fmac_f32_e32 v31, 0x32a5705f, v21
	v_sub_f32_e32 v22, v22, v51
	v_add_f32_e32 v22, v22, v31
	v_exp_f32_e32 v22, v22
	v_cvt_i32_f32_e32 v31, v51
	v_cmp_ngt_f32_e64 s[0:1], s8, v21
	v_mul_f32_e32 v51, v67, v23
	v_mul_f32_e32 v52, v67, v24
	v_ldexp_f32 v22, v22, v31
	v_cndmask_b32_e64 v22, 0, v22, s[0:1]
	v_cmp_nlt_f32_e64 s[0:1], s9, v21
	v_cndmask_b32_e64 v21, v69, v22, s[0:1]
	v_fmac_f32_e32 v51, v60, v21
	v_mul_f32_e32 v21, v66, v8
	v_mul_f32_e32 v22, 0x3fb8aa3b, v21
	v_fma_f32 v23, v21, s7, -v22
	v_rndne_f32_e32 v31, v22
	v_fmac_f32_e32 v23, 0x32a5705f, v21
	v_sub_f32_e32 v22, v22, v31
	v_add_f32_e32 v22, v22, v23
	v_exp_f32_e32 v22, v22
	v_cvt_i32_f32_e32 v23, v31
	v_cmp_ngt_f32_e64 s[0:1], s8, v21
	v_ldexp_f32 v22, v22, v23
	v_cndmask_b32_e64 v22, 0, v22, s[0:1]
	v_cmp_nlt_f32_e64 s[0:1], s9, v21
	v_cndmask_b32_e64 v21, v69, v22, s[0:1]
	v_fmac_f32_e32 v52, v61, v21
	v_mul_f32_e32 v21, v66, v1
	v_mul_f32_e32 v22, 0x3fb8aa3b, v21
	v_fma_f32 v23, v21, s7, -v22
	v_rndne_f32_e32 v24, v22
	v_fmac_f32_e32 v23, 0x32a5705f, v21
	v_sub_f32_e32 v22, v22, v24
	v_add_f32_e32 v22, v22, v23
	v_exp_f32_e32 v22, v22
	v_cvt_i32_f32_e32 v23, v24
	v_cmp_ngt_f32_e64 s[0:1], s8, v21
	v_ldexp_f32 v22, v22, v23
	v_cndmask_b32_e64 v22, 0, v22, s[0:1]
	v_cmp_nlt_f32_e64 s[0:1], s9, v21
	v_cndmask_b32_e64 v21, v69, v22, s[0:1]
	v_fmac_f32_e32 v53, v62, v21
	ds_read_b128 v[21:24], v54 offset:112
	s_waitcnt lgkmcnt(1)
	v_fmac_f32_e32 v68, v55, v49
	v_fmac_f32_e32 v68, v56, v50
	;; [unrolled: 1-line block ×4, first 2 shown]
	s_waitcnt lgkmcnt(0)
	v_fmac_f32_e32 v68, v21, v53
	v_mul_f32_e32 v21, 0x3fb8aa3b, v17
	v_fma_f32 v31, v17, s7, -v21
	v_rndne_f32_e32 v54, v21
	v_fmac_f32_e32 v31, 0x32a5705f, v17
	v_sub_f32_e32 v21, v21, v54
	v_add_f32_e32 v21, v21, v31
	v_exp_f32_e32 v21, v21
	v_cvt_i32_f32_e32 v31, v54
	v_cmp_ngt_f32_e64 s[0:1], s8, v17
	v_mul_f32_e32 v54, v67, v18
	v_mul_f32_e32 v55, v67, v19
	v_ldexp_f32 v21, v21, v31
	v_cndmask_b32_e64 v21, 0, v21, s[0:1]
	v_cmp_nlt_f32_e64 s[0:1], s9, v17
	v_cndmask_b32_e64 v17, v69, v21, s[0:1]
	v_fmac_f32_e32 v54, v63, v17
	v_mul_f32_e32 v17, v66, v3
	v_mul_f32_e32 v18, 0x3fb8aa3b, v17
	v_fmac_f32_e32 v68, v22, v54
	v_fma_f32 v21, v17, s7, -v18
	v_rndne_f32_e32 v22, v18
	v_fmac_f32_e32 v21, 0x32a5705f, v17
	v_sub_f32_e32 v18, v18, v22
	v_add_f32_e32 v18, v18, v21
	v_exp_f32_e32 v18, v18
	v_cvt_i32_f32_e32 v21, v22
	v_cmp_ngt_f32_e64 s[0:1], s8, v17
	v_mul_f32_e32 v31, v67, v20
	v_ldexp_f32 v18, v18, v21
	v_cndmask_b32_e64 v18, 0, v18, s[0:1]
	v_cmp_nlt_f32_e64 s[0:1], s9, v17
	v_cndmask_b32_e64 v17, v69, v18, s[0:1]
	v_fmac_f32_e32 v55, v64, v17
	v_mul_f32_e32 v17, v66, v4
	v_mul_f32_e32 v18, 0x3fb8aa3b, v17
	v_fma_f32 v19, v17, s7, -v18
	v_rndne_f32_e32 v21, v18
	v_fmac_f32_e32 v19, 0x32a5705f, v17
	v_sub_f32_e32 v18, v18, v21
	v_add_f32_e32 v18, v18, v19
	v_exp_f32_e32 v18, v18
	v_cvt_i32_f32_e32 v19, v21
	v_cmp_ngt_f32_e64 s[0:1], s8, v17
	v_fmac_f32_e32 v68, v23, v55
	v_ldexp_f32 v18, v18, v19
	v_cndmask_b32_e64 v18, 0, v18, s[0:1]
	v_cmp_nlt_f32_e64 s[0:1], s9, v17
	v_cndmask_b32_e64 v17, v69, v18, s[0:1]
	v_fmac_f32_e32 v31, v65, v17
	v_mad_i64_i32 v[17:18], s[0:1], s2, 12, v[29:30]
	v_fmac_f32_e32 v68, v24, v31
	global_store_dword v[17:18], v68, off
	s_waitcnt vmcnt(0)
	s_barrier
	s_and_saveexec_b64 s[8:9], vcc
	s_cbranch_execz .LBB9_18
; %bb.17:
	s_lshl_b64 s[0:1], s[18:19], 4
	v_mov_b32_e32 v18, s1
	v_add_co_u32_e64 v17, s[0:1], s0, v35
	v_addc_co_u32_e64 v18, s[0:1], v36, v18, s[0:1]
	s_lshl_b64 s[0:1], s[20:21], 4
	global_load_dword v19, v[17:18], off
	v_mov_b32_e32 v18, s1
	v_add_co_u32_e64 v17, s[0:1], s0, v37
	v_addc_co_u32_e64 v18, s[0:1], v38, v18, s[0:1]
	global_load_dword v17, v[17:18], off
	s_waitcnt vmcnt(1)
	ds_write_b32 v0, v19
	s_waitcnt vmcnt(0)
	ds_write_b32 v41, v17
.LBB9_18:
	s_or_b64 exec, exec, s[8:9]
	v_mov_b32_e32 v17, s29
	v_add_co_u32_e64 v27, s[0:1], s28, v27
	v_addc_co_u32_e64 v28, s[0:1], v28, v17, s[0:1]
	s_waitcnt lgkmcnt(0)
	s_barrier
	global_load_dword v69, v[27:28], off
	s_mov_b32 s0, 0x41a00000
	s_waitcnt vmcnt(0)
	v_cmp_ge_f32_e64 s[0:1], s0, v69
	s_and_saveexec_b64 s[8:9], s[0:1]
	s_cbranch_execz .LBB9_20
; %bb.19:
	v_mul_f32_e32 v17, 0x3fb8aa3b, v69
	s_mov_b32 s0, 0x3fb8aa3b
	v_rndne_f32_e32 v18, v17
	v_sub_f32_e32 v19, v17, v18
	v_fma_f32 v17, v69, s0, -v17
	v_fmac_f32_e32 v17, 0x32a5705f, v69
	v_add_f32_e32 v17, v19, v17
	v_exp_f32_e32 v17, v17
	v_cvt_i32_f32_e32 v18, v18
	s_mov_b32 s0, 0xc2ce8ed0
	v_cmp_ngt_f32_e64 s[0:1], s0, v69
	v_mov_b32_e32 v19, 0x7f800000
	v_ldexp_f32 v17, v17, v18
	v_cndmask_b32_e64 v17, 0, v17, s[0:1]
	s_mov_b32 s0, 0x42b17218
	v_cmp_nlt_f32_e64 s[0:1], s0, v69
	v_cndmask_b32_e64 v20, v19, v17, s[0:1]
	v_add_f32_e32 v21, 1.0, v20
	v_cvt_f64_f32_e32 v[17:18], v21
	v_add_f32_e32 v22, -1.0, v21
	v_sub_f32_e32 v23, v22, v21
	v_sub_f32_e32 v22, v20, v22
	v_frexp_exp_i32_f64_e32 v17, v[17:18]
	v_add_f32_e32 v18, 1.0, v23
	v_add_f32_e32 v18, v22, v18
	v_frexp_mant_f32_e32 v22, v21
	s_mov_b32 s0, 0x3f2aaaab
	v_cmp_gt_f32_e64 s[0:1], s0, v22
	s_mov_b32 s7, 0x7f800000
	v_subbrev_co_u32_e64 v17, s[0:1], 0, v17, s[0:1]
	v_sub_u32_e32 v22, 0, v17
	v_ldexp_f32 v21, v21, v22
	v_ldexp_f32 v18, v18, v22
	v_add_f32_e32 v22, -1.0, v21
	v_add_f32_e32 v56, 1.0, v21
	v_add_f32_e32 v23, 1.0, v22
	v_add_f32_e32 v57, -1.0, v56
	v_sub_f32_e32 v23, v21, v23
	v_sub_f32_e32 v21, v21, v57
	v_add_f32_e32 v23, v18, v23
	v_add_f32_e32 v18, v18, v21
	;; [unrolled: 1-line block ×3, first 2 shown]
	v_rcp_f32_e32 v57, v21
	v_add_f32_e32 v24, v22, v23
	v_sub_f32_e32 v22, v22, v24
	v_add_f32_e32 v22, v23, v22
	v_sub_f32_e32 v23, v56, v21
	v_add_f32_e32 v18, v18, v23
	v_mul_f32_e32 v23, v24, v57
	v_mul_f32_e32 v56, v21, v23
	v_fma_f32 v58, v23, v21, -v56
	v_fmac_f32_e32 v58, v23, v18
	v_add_f32_e32 v59, v56, v58
	v_sub_f32_e32 v60, v24, v59
	v_sub_f32_e32 v24, v24, v60
	;; [unrolled: 1-line block ×4, first 2 shown]
	v_add_f32_e32 v22, v22, v24
	v_sub_f32_e32 v24, v56, v58
	v_add_f32_e32 v22, v24, v22
	v_add_f32_e32 v24, v60, v22
	v_mul_f32_e32 v56, v57, v24
	v_mul_f32_e32 v58, v21, v56
	v_fma_f32 v21, v56, v21, -v58
	v_fmac_f32_e32 v21, v56, v18
	v_sub_f32_e32 v18, v60, v24
	v_add_f32_e32 v18, v22, v18
	v_add_f32_e32 v22, v58, v21
	v_sub_f32_e32 v59, v24, v22
	v_sub_f32_e32 v24, v24, v59
	;; [unrolled: 1-line block ×4, first 2 shown]
	v_add_f32_e32 v18, v18, v22
	v_sub_f32_e32 v21, v58, v21
	v_add_f32_e32 v18, v21, v18
	v_add_f32_e32 v21, v23, v56
	;; [unrolled: 1-line block ×3, first 2 shown]
	v_sub_f32_e32 v22, v21, v23
	v_mul_f32_e32 v18, v57, v18
	v_sub_f32_e32 v22, v56, v22
	v_add_f32_e32 v18, v22, v18
	v_cvt_f32_i32_e32 v17, v17
	v_add_f32_e32 v22, v21, v18
	v_mul_f32_e32 v23, v22, v22
	v_mov_b32_e32 v24, 0x3ecc95a3
	v_fmac_f32_e32 v24, 0x3e9b6dac, v23
	v_mov_b32_e32 v56, 0x3f2aaada
	v_fmac_f32_e32 v56, v23, v24
	s_mov_b32 s0, 0x3f317218
	v_mul_f32_e32 v24, 0x3f317218, v17
	v_fma_f32 v57, v17, s0, -v24
	v_fmac_f32_e32 v57, 0xb102e308, v17
	v_sub_f32_e32 v17, v22, v21
	v_sub_f32_e32 v17, v18, v17
	v_add_f32_e32 v18, v24, v57
	v_sub_f32_e32 v21, v18, v24
	v_ldexp_f32 v24, v22, 1
	v_mul_f32_e32 v22, v22, v23
	v_mul_f32_e32 v22, v22, v56
	v_add_f32_e32 v23, v24, v22
	v_sub_f32_e32 v24, v23, v24
	v_ldexp_f32 v17, v17, 1
	v_sub_f32_e32 v22, v22, v24
	v_add_f32_e32 v17, v17, v22
	v_add_f32_e32 v22, v23, v17
	v_sub_f32_e32 v23, v22, v23
	v_sub_f32_e32 v17, v17, v23
	v_add_f32_e32 v23, v18, v22
	v_sub_f32_e32 v24, v23, v18
	v_sub_f32_e32 v56, v23, v24
	;; [unrolled: 1-line block ×5, first 2 shown]
	v_add_f32_e32 v18, v22, v18
	v_add_f32_e32 v22, v21, v17
	v_sub_f32_e32 v24, v22, v21
	v_sub_f32_e32 v56, v22, v24
	;; [unrolled: 1-line block ×4, first 2 shown]
	v_add_f32_e32 v18, v22, v18
	v_add_f32_e32 v17, v17, v21
	;; [unrolled: 1-line block ×3, first 2 shown]
	v_sub_f32_e32 v22, v21, v23
	v_sub_f32_e32 v18, v18, v22
	v_add_f32_e32 v17, v17, v18
	v_add_f32_e32 v17, v21, v17
	v_cmp_neq_f32_e64 s[0:1], s7, v20
	v_cndmask_b32_e64 v17, v19, v17, s[0:1]
	s_mov_b32 s0, 0x33800000
	v_cmp_gt_f32_e64 s[0:1], s0, v20
	v_cndmask_b32_e64 v69, v17, v20, s[0:1]
.LBB9_20:
	s_or_b64 exec, exec, s[8:9]
	v_add_co_u32_e64 v25, s[0:1], s30, v25
	v_mov_b32_e32 v17, s31
	v_addc_co_u32_e64 v26, s[0:1], v26, v17, s[0:1]
	global_load_dword v17, v[25:26], off
	s_mov_b32 s7, 0x3fb8aa3b
	s_mov_b32 s8, 0xc2ce8ed0
	;; [unrolled: 1-line block ×3, first 2 shown]
	v_mov_b32_e32 v72, 0x7f800000
	v_mov_b32_e32 v67, 0
	s_ashr_i64 s[4:5], s[4:5], 28
	s_waitcnt vmcnt(0)
	v_mul_f32_e32 v70, v69, v17
	v_mul_f32_e32 v17, v69, v13
	;; [unrolled: 1-line block ×3, first 2 shown]
	v_fma_f32 v19, v17, s7, -v18
	v_rndne_f32_e32 v20, v18
	v_fmac_f32_e32 v19, 0x32a5705f, v17
	v_sub_f32_e32 v18, v18, v20
	v_add_f32_e32 v18, v18, v19
	v_exp_f32_e32 v18, v18
	v_cvt_i32_f32_e32 v19, v20
	v_cmp_ngt_f32_e64 s[0:1], s8, v17
	v_ldexp_f32 v18, v18, v19
	v_cndmask_b32_e64 v18, 0, v18, s[0:1]
	v_cmp_nlt_f32_e64 s[0:1], s9, v17
	v_cndmask_b32_e64 v64, v72, v18, s[0:1]
	ds_read_b128 v[56:59], v67
	ds_read_b128 v[60:63], v67 offset:16
	ds_read_b128 v[21:24], v67 offset:32
	;; [unrolled: 1-line block ×4, first 2 shown]
	s_waitcnt lgkmcnt(4)
	v_mul_f32_e32 v56, v70, v56
	v_fmac_f32_e32 v56, v32, v64
	v_mul_f32_e32 v32, v69, v14
	v_mul_f32_e32 v64, 0x3fb8aa3b, v32
	v_fma_f32 v65, v32, s7, -v64
	v_rndne_f32_e32 v66, v64
	v_fmac_f32_e32 v65, 0x32a5705f, v32
	v_sub_f32_e32 v64, v64, v66
	v_add_f32_e32 v64, v64, v65
	v_exp_f32_e32 v64, v64
	v_cvt_i32_f32_e32 v65, v66
	v_cmp_ngt_f32_e64 s[0:1], s8, v32
	s_waitcnt lgkmcnt(1)
	v_mul_f32_e32 v66, v70, v17
	v_mul_f32_e32 v17, v69, v2
	v_ldexp_f32 v64, v64, v65
	v_cndmask_b32_e64 v64, 0, v64, s[0:1]
	v_cmp_nlt_f32_e64 s[0:1], s9, v32
	v_cndmask_b32_e64 v64, v72, v64, s[0:1]
	v_mul_f32_e32 v32, v70, v57
	v_fmac_f32_e32 v32, v42, v64
	v_mul_f32_e32 v42, v69, v15
	v_mul_f32_e32 v57, 0x3fb8aa3b, v42
	v_fma_f32 v64, v42, s7, -v57
	v_rndne_f32_e32 v65, v57
	v_fmac_f32_e32 v64, 0x32a5705f, v42
	v_sub_f32_e32 v57, v57, v65
	v_add_f32_e32 v57, v57, v64
	v_exp_f32_e32 v57, v57
	v_cvt_i32_f32_e32 v64, v65
	v_cmp_ngt_f32_e64 s[0:1], s8, v42
	v_mul_f32_e32 v65, v70, v24
	v_mul_f32_e32 v68, v70, v19
	v_ldexp_f32 v57, v57, v64
	v_cndmask_b32_e64 v57, 0, v57, s[0:1]
	v_cmp_nlt_f32_e64 s[0:1], s9, v42
	v_cndmask_b32_e64 v42, v72, v57, s[0:1]
	v_mul_f32_e32 v57, v70, v58
	v_fmac_f32_e32 v57, v43, v42
	v_mul_f32_e32 v42, v69, v16
	v_mul_f32_e32 v43, 0x3fb8aa3b, v42
	v_fma_f32 v58, v42, s7, -v43
	v_rndne_f32_e32 v64, v43
	v_fmac_f32_e32 v58, 0x32a5705f, v42
	v_sub_f32_e32 v43, v43, v64
	v_add_f32_e32 v43, v43, v58
	v_exp_f32_e32 v43, v43
	v_cvt_i32_f32_e32 v58, v64
	v_cmp_ngt_f32_e64 s[0:1], s8, v42
	v_mul_f32_e32 v64, v70, v23
	v_ldexp_f32 v43, v43, v58
	v_cndmask_b32_e64 v43, 0, v43, s[0:1]
	v_cmp_nlt_f32_e64 s[0:1], s9, v42
	v_cndmask_b32_e64 v42, v72, v43, s[0:1]
	v_mul_f32_e32 v43, v70, v59
	v_fmac_f32_e32 v43, v44, v42
	v_mul_f32_e32 v42, v69, v9
	v_mul_f32_e32 v44, 0x3fb8aa3b, v42
	v_fma_f32 v58, v42, s7, -v44
	v_rndne_f32_e32 v59, v44
	v_fmac_f32_e32 v58, 0x32a5705f, v42
	v_sub_f32_e32 v44, v44, v59
	v_add_f32_e32 v44, v44, v58
	v_exp_f32_e32 v44, v44
	v_cvt_i32_f32_e32 v58, v59
	v_cmp_ngt_f32_e64 s[0:1], s8, v42
	v_ldexp_f32 v44, v44, v58
	v_cndmask_b32_e64 v44, 0, v44, s[0:1]
	v_cmp_nlt_f32_e64 s[0:1], s9, v42
	v_cndmask_b32_e64 v42, v72, v44, s[0:1]
	v_mul_f32_e32 v58, v70, v60
	v_fmac_f32_e32 v58, v45, v42
	v_mul_f32_e32 v42, v69, v10
	v_mul_f32_e32 v44, 0x3fb8aa3b, v42
	v_fma_f32 v45, v42, s7, -v44
	v_rndne_f32_e32 v59, v44
	v_fmac_f32_e32 v45, 0x32a5705f, v42
	v_sub_f32_e32 v44, v44, v59
	v_add_f32_e32 v44, v44, v45
	v_exp_f32_e32 v44, v44
	v_cvt_i32_f32_e32 v45, v59
	v_cmp_ngt_f32_e64 s[0:1], s8, v42
	v_mul_f32_e32 v59, v70, v61
	v_mul_f32_e32 v60, v70, v62
	v_ldexp_f32 v44, v44, v45
	v_cndmask_b32_e64 v44, 0, v44, s[0:1]
	v_cmp_nlt_f32_e64 s[0:1], s9, v42
	v_cndmask_b32_e64 v42, v72, v44, s[0:1]
	v_fmac_f32_e32 v59, v46, v42
	v_mul_f32_e32 v42, v69, v11
	v_mul_f32_e32 v44, 0x3fb8aa3b, v42
	v_fma_f32 v45, v42, s7, -v44
	v_rndne_f32_e32 v46, v44
	v_fmac_f32_e32 v45, 0x32a5705f, v42
	v_sub_f32_e32 v44, v44, v46
	v_add_f32_e32 v44, v44, v45
	v_exp_f32_e32 v44, v44
	v_cvt_i32_f32_e32 v45, v46
	v_cmp_ngt_f32_e64 s[0:1], s8, v42
	v_mul_f32_e32 v61, v70, v63
	v_mul_f32_e32 v62, v70, v21
	v_ldexp_f32 v44, v44, v45
	v_cndmask_b32_e64 v44, 0, v44, s[0:1]
	v_cmp_nlt_f32_e64 s[0:1], s9, v42
	v_cndmask_b32_e64 v42, v72, v44, s[0:1]
	;; [unrolled: 17-line block ×3, first 2 shown]
	v_fmac_f32_e32 v61, v48, v42
	v_mul_f32_e32 v42, v69, v5
	v_mul_f32_e32 v44, 0x3fb8aa3b, v42
	v_fma_f32 v45, v42, s7, -v44
	v_rndne_f32_e32 v46, v44
	v_fmac_f32_e32 v45, 0x32a5705f, v42
	v_sub_f32_e32 v44, v44, v46
	v_add_f32_e32 v44, v44, v45
	v_exp_f32_e32 v44, v44
	v_cvt_i32_f32_e32 v45, v46
	v_cmp_ngt_f32_e64 s[0:1], s8, v42
	v_ldexp_f32 v44, v44, v45
	v_cndmask_b32_e64 v44, 0, v44, s[0:1]
	v_cmp_nlt_f32_e64 s[0:1], s9, v42
	v_cndmask_b32_e64 v42, v72, v44, s[0:1]
	ds_read_b128 v[44:47], v67 offset:96
	s_waitcnt lgkmcnt(1)
	v_fma_f32 v71, v73, v56, 0
	v_fmac_f32_e32 v71, v74, v32
	v_fmac_f32_e32 v71, v75, v57
	;; [unrolled: 1-line block ×3, first 2 shown]
	ds_read_b128 v[73:76], v67 offset:80
	v_fmac_f32_e32 v62, v49, v42
	v_mul_f32_e32 v42, 0x3fb8aa3b, v21
	v_rndne_f32_e32 v48, v42
	v_cmp_ngt_f32_e64 s[0:1], s8, v21
	s_waitcnt lgkmcnt(0)
	v_fmac_f32_e32 v71, v73, v58
	v_fmac_f32_e32 v71, v74, v59
	;; [unrolled: 1-line block ×5, first 2 shown]
	v_fma_f32 v44, v21, s7, -v42
	v_fmac_f32_e32 v44, 0x32a5705f, v21
	v_sub_f32_e32 v42, v42, v48
	v_add_f32_e32 v42, v42, v44
	v_exp_f32_e32 v42, v42
	v_cvt_i32_f32_e32 v44, v48
	v_ldexp_f32 v42, v42, v44
	v_cndmask_b32_e64 v42, 0, v42, s[0:1]
	v_cmp_nlt_f32_e64 s[0:1], s9, v21
	v_cndmask_b32_e64 v21, v72, v42, s[0:1]
	v_fmac_f32_e32 v63, v50, v21
	v_mul_f32_e32 v21, v69, v7
	v_mul_f32_e32 v22, 0x3fb8aa3b, v21
	v_fma_f32 v42, v21, s7, -v22
	v_rndne_f32_e32 v44, v22
	v_fmac_f32_e32 v42, 0x32a5705f, v21
	v_sub_f32_e32 v22, v22, v44
	v_add_f32_e32 v22, v22, v42
	v_exp_f32_e32 v22, v22
	v_cvt_i32_f32_e32 v42, v44
	v_cmp_ngt_f32_e64 s[0:1], s8, v21
	v_fmac_f32_e32 v71, v45, v63
	v_ldexp_f32 v22, v22, v42
	v_cndmask_b32_e64 v22, 0, v22, s[0:1]
	v_cmp_nlt_f32_e64 s[0:1], s9, v21
	v_cndmask_b32_e64 v21, v72, v22, s[0:1]
	v_fmac_f32_e32 v64, v51, v21
	v_mul_f32_e32 v21, v69, v8
	v_mul_f32_e32 v22, 0x3fb8aa3b, v21
	v_fma_f32 v23, v21, s7, -v22
	v_rndne_f32_e32 v42, v22
	v_fmac_f32_e32 v23, 0x32a5705f, v21
	v_sub_f32_e32 v22, v22, v42
	v_add_f32_e32 v22, v22, v23
	v_exp_f32_e32 v22, v22
	v_cvt_i32_f32_e32 v23, v42
	v_cmp_ngt_f32_e64 s[0:1], s8, v21
	v_fmac_f32_e32 v71, v46, v64
	;; [unrolled: 16-line block ×3, first 2 shown]
	v_ldexp_f32 v22, v22, v23
	v_cndmask_b32_e64 v22, 0, v22, s[0:1]
	v_cmp_nlt_f32_e64 s[0:1], s9, v21
	v_cndmask_b32_e64 v21, v72, v22, s[0:1]
	v_fmac_f32_e32 v66, v53, v21
	ds_read_b128 v[21:24], v67 offset:112
	v_cmp_ngt_f32_e64 s[0:1], s8, v17
	v_mul_f32_e32 v67, v70, v18
	s_waitcnt lgkmcnt(0)
	v_fmac_f32_e32 v71, v21, v66
	v_mul_f32_e32 v21, 0x3fb8aa3b, v17
	v_fma_f32 v42, v17, s7, -v21
	v_rndne_f32_e32 v44, v21
	v_fmac_f32_e32 v42, 0x32a5705f, v17
	v_sub_f32_e32 v21, v21, v44
	v_add_f32_e32 v21, v21, v42
	v_exp_f32_e32 v21, v21
	v_cvt_i32_f32_e32 v42, v44
	v_ldexp_f32 v21, v21, v42
	v_cndmask_b32_e64 v21, 0, v21, s[0:1]
	v_cmp_nlt_f32_e64 s[0:1], s9, v17
	v_cndmask_b32_e64 v17, v72, v21, s[0:1]
	v_fmac_f32_e32 v67, v54, v17
	v_mul_f32_e32 v17, v69, v3
	v_mul_f32_e32 v18, 0x3fb8aa3b, v17
	v_fmac_f32_e32 v71, v22, v67
	v_fma_f32 v21, v17, s7, -v18
	v_rndne_f32_e32 v22, v18
	v_fmac_f32_e32 v21, 0x32a5705f, v17
	v_sub_f32_e32 v18, v18, v22
	v_add_f32_e32 v18, v18, v21
	v_exp_f32_e32 v18, v18
	v_cvt_i32_f32_e32 v21, v22
	v_cmp_ngt_f32_e64 s[0:1], s8, v17
	v_ldexp_f32 v18, v18, v21
	v_cndmask_b32_e64 v18, 0, v18, s[0:1]
	v_cmp_nlt_f32_e64 s[0:1], s9, v17
	v_cndmask_b32_e64 v17, v72, v18, s[0:1]
	v_fmac_f32_e32 v68, v55, v17
	v_mul_f32_e32 v17, v69, v4
	v_mul_f32_e32 v18, 0x3fb8aa3b, v17
	v_fma_f32 v19, v17, s7, -v18
	v_rndne_f32_e32 v21, v18
	v_fmac_f32_e32 v19, 0x32a5705f, v17
	v_sub_f32_e32 v18, v18, v21
	v_add_f32_e32 v18, v18, v19
	v_exp_f32_e32 v18, v18
	v_cvt_i32_f32_e32 v19, v21
	v_cmp_ngt_f32_e64 s[0:1], s8, v17
	v_mul_f32_e32 v69, v70, v20
	v_fmac_f32_e32 v71, v23, v68
	v_ldexp_f32 v18, v18, v19
	v_cndmask_b32_e64 v18, 0, v18, s[0:1]
	v_cmp_nlt_f32_e64 s[0:1], s9, v17
	v_cndmask_b32_e64 v17, v72, v18, s[0:1]
	v_fmac_f32_e32 v69, v31, v17
	v_add_co_u32_e64 v17, s[0:1], s4, v29
	v_mov_b32_e32 v18, s5
	v_fmac_f32_e32 v71, v24, v69
	v_addc_co_u32_e64 v18, s[0:1], v30, v18, s[0:1]
	global_store_dword v[17:18], v71, off
	s_waitcnt vmcnt(0)
	s_barrier
	s_and_saveexec_b64 s[0:1], vcc
	s_cbranch_execz .LBB9_22
; %bb.21:
	v_mad_i64_i32 v[17:18], s[4:5], s18, 20, v[35:36]
	v_mad_i64_i32 v[19:20], s[4:5], s20, 20, v[37:38]
	global_load_dword v21, v[17:18], off
	global_load_dword v22, v[19:20], off
	s_waitcnt vmcnt(1)
	ds_write_b32 v0, v21
	s_waitcnt vmcnt(0)
	ds_write_b32 v41, v22
.LBB9_22:
	s_or_b64 exec, exec, s[0:1]
	v_mov_b32_e32 v17, s29
	v_add_co_u32_e64 v27, s[0:1], s28, v27
	v_addc_co_u32_e64 v28, s[0:1], v28, v17, s[0:1]
	s_waitcnt lgkmcnt(0)
	s_barrier
	global_load_dword v31, v[27:28], off
	s_mov_b32 s0, 0x41a00000
	s_waitcnt vmcnt(0)
	v_cmp_ge_f32_e64 s[0:1], s0, v31
	s_and_saveexec_b64 s[4:5], s[0:1]
	s_cbranch_execz .LBB9_24
; %bb.23:
	v_mul_f32_e32 v17, 0x3fb8aa3b, v31
	s_mov_b32 s0, 0x3fb8aa3b
	v_rndne_f32_e32 v18, v17
	v_sub_f32_e32 v19, v17, v18
	v_fma_f32 v17, v31, s0, -v17
	v_fmac_f32_e32 v17, 0x32a5705f, v31
	v_add_f32_e32 v17, v19, v17
	v_exp_f32_e32 v17, v17
	v_cvt_i32_f32_e32 v18, v18
	s_mov_b32 s0, 0xc2ce8ed0
	v_cmp_ngt_f32_e64 s[0:1], s0, v31
	v_mov_b32_e32 v19, 0x7f800000
	v_ldexp_f32 v17, v17, v18
	v_cndmask_b32_e64 v17, 0, v17, s[0:1]
	s_mov_b32 s0, 0x42b17218
	v_cmp_nlt_f32_e64 s[0:1], s0, v31
	v_cndmask_b32_e64 v20, v19, v17, s[0:1]
	v_add_f32_e32 v21, 1.0, v20
	v_cvt_f64_f32_e32 v[17:18], v21
	v_add_f32_e32 v22, -1.0, v21
	v_sub_f32_e32 v23, v22, v21
	v_sub_f32_e32 v22, v20, v22
	v_frexp_exp_i32_f64_e32 v17, v[17:18]
	v_add_f32_e32 v18, 1.0, v23
	v_add_f32_e32 v18, v22, v18
	v_frexp_mant_f32_e32 v22, v21
	s_mov_b32 s0, 0x3f2aaaab
	v_cmp_gt_f32_e64 s[0:1], s0, v22
	s_mov_b32 s7, 0x7f800000
	v_subbrev_co_u32_e64 v17, s[0:1], 0, v17, s[0:1]
	v_sub_u32_e32 v22, 0, v17
	v_ldexp_f32 v21, v21, v22
	v_ldexp_f32 v18, v18, v22
	v_add_f32_e32 v22, -1.0, v21
	v_add_f32_e32 v31, 1.0, v21
	v_add_f32_e32 v23, 1.0, v22
	v_add_f32_e32 v42, -1.0, v31
	v_sub_f32_e32 v23, v21, v23
	v_sub_f32_e32 v21, v21, v42
	v_add_f32_e32 v23, v18, v23
	v_add_f32_e32 v18, v18, v21
	;; [unrolled: 1-line block ×3, first 2 shown]
	v_rcp_f32_e32 v42, v21
	v_add_f32_e32 v24, v22, v23
	v_sub_f32_e32 v22, v22, v24
	v_add_f32_e32 v22, v23, v22
	v_sub_f32_e32 v23, v31, v21
	v_add_f32_e32 v18, v18, v23
	v_mul_f32_e32 v23, v24, v42
	v_mul_f32_e32 v31, v21, v23
	v_fma_f32 v44, v23, v21, -v31
	v_fmac_f32_e32 v44, v23, v18
	v_add_f32_e32 v45, v31, v44
	v_sub_f32_e32 v46, v24, v45
	v_sub_f32_e32 v24, v24, v46
	;; [unrolled: 1-line block ×4, first 2 shown]
	v_add_f32_e32 v22, v22, v24
	v_sub_f32_e32 v24, v31, v44
	v_add_f32_e32 v22, v24, v22
	v_add_f32_e32 v24, v46, v22
	v_mul_f32_e32 v31, v42, v24
	v_mul_f32_e32 v44, v21, v31
	v_fma_f32 v21, v31, v21, -v44
	v_fmac_f32_e32 v21, v31, v18
	v_sub_f32_e32 v18, v46, v24
	v_add_f32_e32 v18, v22, v18
	v_add_f32_e32 v22, v44, v21
	v_sub_f32_e32 v45, v24, v22
	v_sub_f32_e32 v24, v24, v45
	;; [unrolled: 1-line block ×4, first 2 shown]
	v_add_f32_e32 v18, v18, v22
	v_sub_f32_e32 v21, v44, v21
	v_add_f32_e32 v18, v21, v18
	v_add_f32_e32 v21, v23, v31
	;; [unrolled: 1-line block ×3, first 2 shown]
	v_sub_f32_e32 v22, v21, v23
	v_mul_f32_e32 v18, v42, v18
	v_sub_f32_e32 v22, v31, v22
	v_add_f32_e32 v18, v22, v18
	v_cvt_f32_i32_e32 v17, v17
	v_add_f32_e32 v22, v21, v18
	v_mul_f32_e32 v23, v22, v22
	v_mov_b32_e32 v24, 0x3ecc95a3
	v_fmac_f32_e32 v24, 0x3e9b6dac, v23
	v_mov_b32_e32 v31, 0x3f2aaada
	v_fmac_f32_e32 v31, v23, v24
	s_mov_b32 s0, 0x3f317218
	v_mul_f32_e32 v24, 0x3f317218, v17
	v_fma_f32 v42, v17, s0, -v24
	v_fmac_f32_e32 v42, 0xb102e308, v17
	v_sub_f32_e32 v17, v22, v21
	v_sub_f32_e32 v17, v18, v17
	v_add_f32_e32 v18, v24, v42
	v_sub_f32_e32 v21, v18, v24
	v_ldexp_f32 v24, v22, 1
	v_mul_f32_e32 v22, v22, v23
	v_mul_f32_e32 v22, v22, v31
	v_add_f32_e32 v23, v24, v22
	v_sub_f32_e32 v24, v23, v24
	v_ldexp_f32 v17, v17, 1
	v_sub_f32_e32 v22, v22, v24
	v_add_f32_e32 v17, v17, v22
	v_add_f32_e32 v22, v23, v17
	v_sub_f32_e32 v23, v22, v23
	v_sub_f32_e32 v17, v17, v23
	v_add_f32_e32 v23, v18, v22
	v_sub_f32_e32 v24, v23, v18
	v_sub_f32_e32 v31, v23, v24
	;; [unrolled: 1-line block ×5, first 2 shown]
	v_add_f32_e32 v18, v22, v18
	v_add_f32_e32 v22, v21, v17
	v_sub_f32_e32 v24, v22, v21
	v_sub_f32_e32 v31, v22, v24
	;; [unrolled: 1-line block ×4, first 2 shown]
	v_add_f32_e32 v18, v22, v18
	v_add_f32_e32 v17, v17, v21
	;; [unrolled: 1-line block ×3, first 2 shown]
	v_sub_f32_e32 v22, v21, v23
	v_sub_f32_e32 v18, v18, v22
	v_add_f32_e32 v17, v17, v18
	v_add_f32_e32 v17, v21, v17
	v_cmp_neq_f32_e64 s[0:1], s7, v20
	v_cndmask_b32_e64 v17, v19, v17, s[0:1]
	s_mov_b32 s0, 0x33800000
	v_cmp_gt_f32_e64 s[0:1], s0, v20
	v_cndmask_b32_e64 v31, v17, v20, s[0:1]
.LBB9_24:
	s_or_b64 exec, exec, s[4:5]
	v_add_co_u32_e64 v25, s[0:1], s30, v25
	v_mov_b32_e32 v17, s31
	v_addc_co_u32_e64 v26, s[0:1], v26, v17, s[0:1]
	global_load_dword v17, v[25:26], off
	s_mov_b32 s4, 0x3fb8aa3b
	s_mov_b32 s5, 0xc2ce8ed0
	;; [unrolled: 1-line block ×3, first 2 shown]
	v_mov_b32_e32 v72, 0x7f800000
	v_mov_b32_e32 v73, 0
	s_waitcnt vmcnt(0)
	v_mul_f32_e32 v70, v31, v17
	v_mul_f32_e32 v17, v31, v13
	v_mul_f32_e32 v18, 0x3fb8aa3b, v17
	v_fma_f32 v19, v17, s4, -v18
	v_rndne_f32_e32 v20, v18
	v_fmac_f32_e32 v19, 0x32a5705f, v17
	v_sub_f32_e32 v18, v18, v20
	v_add_f32_e32 v18, v18, v19
	v_exp_f32_e32 v18, v18
	v_cvt_i32_f32_e32 v19, v20
	v_cmp_ngt_f32_e64 s[0:1], s5, v17
	v_ldexp_f32 v18, v18, v19
	v_cndmask_b32_e64 v18, 0, v18, s[0:1]
	v_cmp_nlt_f32_e64 s[0:1], s7, v17
	v_cndmask_b32_e64 v52, v72, v18, s[0:1]
	ds_read_b128 v[44:47], v73
	ds_read_b128 v[48:51], v73 offset:16
	ds_read_b128 v[21:24], v73 offset:32
	;; [unrolled: 1-line block ×3, first 2 shown]
	s_waitcnt lgkmcnt(3)
	v_mul_f32_e32 v42, v70, v44
	v_fmac_f32_e32 v42, v56, v52
	ds_read_b128 v[52:55], v73 offset:64
	v_mul_f32_e32 v44, v31, v14
	v_cmp_ngt_f32_e64 s[0:1], s5, v44
	s_waitcnt lgkmcnt(0)
	v_fma_f32 v71, v52, v42, 0
	v_mul_f32_e32 v52, 0x3fb8aa3b, v44
	v_fma_f32 v56, v44, s4, -v52
	v_rndne_f32_e32 v74, v52
	v_fmac_f32_e32 v56, 0x32a5705f, v44
	v_sub_f32_e32 v52, v52, v74
	v_add_f32_e32 v52, v52, v56
	v_exp_f32_e32 v52, v52
	v_cvt_i32_f32_e32 v56, v74
	v_ldexp_f32 v52, v52, v56
	v_cndmask_b32_e64 v52, 0, v52, s[0:1]
	v_cmp_nlt_f32_e64 s[0:1], s7, v44
	v_cndmask_b32_e64 v52, v72, v52, s[0:1]
	v_mul_f32_e32 v44, v70, v45
	v_fmac_f32_e32 v44, v32, v52
	v_mul_f32_e32 v32, v31, v15
	v_mul_f32_e32 v45, 0x3fb8aa3b, v32
	v_fmac_f32_e32 v71, v53, v44
	v_fma_f32 v52, v32, s4, -v45
	v_rndne_f32_e32 v53, v45
	v_fmac_f32_e32 v52, 0x32a5705f, v32
	v_sub_f32_e32 v45, v45, v53
	v_add_f32_e32 v45, v45, v52
	v_exp_f32_e32 v45, v45
	v_cvt_i32_f32_e32 v52, v53
	v_cmp_ngt_f32_e64 s[0:1], s5, v32
	v_mul_f32_e32 v56, v70, v18
	v_ldexp_f32 v45, v45, v52
	v_cndmask_b32_e64 v45, 0, v45, s[0:1]
	v_cmp_nlt_f32_e64 s[0:1], s7, v32
	v_cndmask_b32_e64 v32, v72, v45, s[0:1]
	v_mul_f32_e32 v45, v70, v46
	v_fmac_f32_e32 v45, v57, v32
	v_mul_f32_e32 v32, v31, v16
	v_mul_f32_e32 v46, 0x3fb8aa3b, v32
	v_fma_f32 v52, v32, s4, -v46
	v_rndne_f32_e32 v53, v46
	v_fmac_f32_e32 v52, 0x32a5705f, v32
	v_sub_f32_e32 v46, v46, v53
	v_add_f32_e32 v46, v46, v52
	v_exp_f32_e32 v46, v46
	v_cvt_i32_f32_e32 v52, v53
	v_cmp_ngt_f32_e64 s[0:1], s5, v32
	v_fmac_f32_e32 v71, v54, v45
	v_mul_f32_e32 v57, v70, v19
	v_ldexp_f32 v46, v46, v52
	v_cndmask_b32_e64 v46, 0, v46, s[0:1]
	v_cmp_nlt_f32_e64 s[0:1], s7, v32
	v_cndmask_b32_e64 v32, v72, v46, s[0:1]
	v_mul_f32_e32 v46, v70, v47
	v_fmac_f32_e32 v46, v43, v32
	v_mul_f32_e32 v32, v31, v9
	v_mul_f32_e32 v43, 0x3fb8aa3b, v32
	v_fma_f32 v47, v32, s4, -v43
	v_rndne_f32_e32 v52, v43
	v_fmac_f32_e32 v47, 0x32a5705f, v32
	v_sub_f32_e32 v43, v43, v52
	v_add_f32_e32 v43, v43, v47
	v_exp_f32_e32 v43, v43
	v_cvt_i32_f32_e32 v47, v52
	v_fmac_f32_e32 v71, v55, v46
	v_cmp_ngt_f32_e64 s[0:1], s5, v32
	ds_read_b128 v[52:55], v73 offset:80
	v_ldexp_f32 v43, v43, v47
	v_cndmask_b32_e64 v43, 0, v43, s[0:1]
	v_cmp_nlt_f32_e64 s[0:1], s7, v32
	v_cndmask_b32_e64 v32, v72, v43, s[0:1]
	v_mul_f32_e32 v47, v70, v48
	v_fmac_f32_e32 v47, v58, v32
	v_mul_f32_e32 v32, v31, v10
	v_mul_f32_e32 v43, 0x3fb8aa3b, v32
	s_waitcnt lgkmcnt(0)
	v_fmac_f32_e32 v71, v52, v47
	v_fma_f32 v48, v32, s4, -v43
	v_rndne_f32_e32 v52, v43
	v_fmac_f32_e32 v48, 0x32a5705f, v32
	v_sub_f32_e32 v43, v43, v52
	v_add_f32_e32 v43, v43, v48
	v_exp_f32_e32 v43, v43
	v_cvt_i32_f32_e32 v48, v52
	v_cmp_ngt_f32_e64 s[0:1], s5, v32
	v_ldexp_f32 v43, v43, v48
	v_cndmask_b32_e64 v43, 0, v43, s[0:1]
	v_cmp_nlt_f32_e64 s[0:1], s7, v32
	v_cndmask_b32_e64 v32, v72, v43, s[0:1]
	v_mul_f32_e32 v48, v70, v49
	v_fmac_f32_e32 v48, v59, v32
	v_mul_f32_e32 v32, v31, v11
	v_mul_f32_e32 v43, 0x3fb8aa3b, v32
	v_fma_f32 v49, v32, s4, -v43
	v_rndne_f32_e32 v52, v43
	v_fmac_f32_e32 v49, 0x32a5705f, v32
	v_sub_f32_e32 v43, v43, v52
	v_add_f32_e32 v43, v43, v49
	v_exp_f32_e32 v43, v43
	v_cvt_i32_f32_e32 v49, v52
	v_cmp_ngt_f32_e64 s[0:1], s5, v32
	v_fmac_f32_e32 v71, v53, v48
	v_ldexp_f32 v43, v43, v49
	v_cndmask_b32_e64 v43, 0, v43, s[0:1]
	v_cmp_nlt_f32_e64 s[0:1], s7, v32
	v_cndmask_b32_e64 v32, v72, v43, s[0:1]
	v_mul_f32_e32 v49, v70, v50
	v_fmac_f32_e32 v49, v60, v32
	v_mul_f32_e32 v32, v31, v12
	v_mul_f32_e32 v43, 0x3fb8aa3b, v32
	v_fma_f32 v50, v32, s4, -v43
	v_rndne_f32_e32 v52, v43
	v_fmac_f32_e32 v50, 0x32a5705f, v32
	v_sub_f32_e32 v43, v43, v52
	v_add_f32_e32 v43, v43, v50
	v_exp_f32_e32 v43, v43
	v_cvt_i32_f32_e32 v50, v52
	v_cmp_ngt_f32_e64 s[0:1], s5, v32
	v_fmac_f32_e32 v71, v54, v49
	v_ldexp_f32 v43, v43, v50
	v_cndmask_b32_e64 v43, 0, v43, s[0:1]
	v_cmp_nlt_f32_e64 s[0:1], s7, v32
	v_cndmask_b32_e64 v32, v72, v43, s[0:1]
	v_mul_f32_e32 v50, v70, v51
	v_fmac_f32_e32 v50, v61, v32
	v_mul_f32_e32 v32, v31, v5
	v_mul_f32_e32 v43, 0x3fb8aa3b, v32
	v_fma_f32 v51, v32, s4, -v43
	v_rndne_f32_e32 v52, v43
	v_fmac_f32_e32 v51, 0x32a5705f, v32
	v_sub_f32_e32 v43, v43, v52
	v_add_f32_e32 v43, v43, v51
	v_exp_f32_e32 v43, v43
	v_cvt_i32_f32_e32 v51, v52
	v_fmac_f32_e32 v71, v55, v50
	ds_read_b128 v[52:55], v73 offset:96
	v_cmp_ngt_f32_e64 s[0:1], s5, v32
	v_ldexp_f32 v43, v43, v51
	v_cndmask_b32_e64 v43, 0, v43, s[0:1]
	v_cmp_nlt_f32_e64 s[0:1], s7, v32
	v_cndmask_b32_e64 v32, v72, v43, s[0:1]
	v_mul_f32_e32 v51, v70, v21
	v_mul_f32_e32 v21, v31, v6
	v_fmac_f32_e32 v51, v62, v32
	v_mul_f32_e32 v32, 0x3fb8aa3b, v21
	s_waitcnt lgkmcnt(0)
	v_fmac_f32_e32 v71, v52, v51
	v_fma_f32 v43, v21, s4, -v32
	v_rndne_f32_e32 v52, v32
	v_fmac_f32_e32 v43, 0x32a5705f, v21
	v_sub_f32_e32 v32, v32, v52
	v_add_f32_e32 v32, v32, v43
	v_exp_f32_e32 v32, v32
	v_cvt_i32_f32_e32 v43, v52
	v_cmp_ngt_f32_e64 s[0:1], s5, v21
	v_mul_f32_e32 v52, v70, v22
	v_ldexp_f32 v32, v32, v43
	v_cndmask_b32_e64 v32, 0, v32, s[0:1]
	v_cmp_nlt_f32_e64 s[0:1], s7, v21
	v_cndmask_b32_e64 v21, v72, v32, s[0:1]
	v_fmac_f32_e32 v52, v63, v21
	v_mul_f32_e32 v21, v31, v7
	v_mul_f32_e32 v22, 0x3fb8aa3b, v21
	v_fma_f32 v32, v21, s4, -v22
	v_rndne_f32_e32 v43, v22
	v_fmac_f32_e32 v32, 0x32a5705f, v21
	v_sub_f32_e32 v22, v22, v43
	v_add_f32_e32 v22, v22, v32
	v_exp_f32_e32 v22, v22
	v_cvt_i32_f32_e32 v32, v43
	v_cmp_ngt_f32_e64 s[0:1], s5, v21
	v_fmac_f32_e32 v71, v53, v52
	v_mul_f32_e32 v53, v70, v23
	v_ldexp_f32 v22, v22, v32
	v_cndmask_b32_e64 v22, 0, v22, s[0:1]
	v_cmp_nlt_f32_e64 s[0:1], s7, v21
	v_cndmask_b32_e64 v21, v72, v22, s[0:1]
	v_fmac_f32_e32 v53, v64, v21
	v_mul_f32_e32 v21, v31, v8
	v_mul_f32_e32 v22, 0x3fb8aa3b, v21
	v_fma_f32 v23, v21, s4, -v22
	v_rndne_f32_e32 v32, v22
	v_fmac_f32_e32 v23, 0x32a5705f, v21
	v_sub_f32_e32 v22, v22, v32
	v_add_f32_e32 v22, v22, v23
	v_exp_f32_e32 v22, v22
	v_cvt_i32_f32_e32 v23, v32
	v_cmp_ngt_f32_e64 s[0:1], s5, v21
	v_fmac_f32_e32 v71, v54, v53
	;; [unrolled: 17-line block ×3, first 2 shown]
	v_mul_f32_e32 v55, v70, v17
	v_ldexp_f32 v22, v22, v23
	v_cndmask_b32_e64 v22, 0, v22, s[0:1]
	v_cmp_nlt_f32_e64 s[0:1], s7, v21
	v_cndmask_b32_e64 v21, v72, v22, s[0:1]
	v_fmac_f32_e32 v55, v66, v21
	ds_read_b128 v[21:24], v73 offset:112
	v_mul_f32_e32 v17, v31, v2
	v_cmp_ngt_f32_e64 s[0:1], s5, v17
	s_waitcnt lgkmcnt(0)
	v_fmac_f32_e32 v71, v21, v55
	v_mul_f32_e32 v21, 0x3fb8aa3b, v17
	v_fma_f32 v32, v17, s4, -v21
	v_rndne_f32_e32 v43, v21
	v_fmac_f32_e32 v32, 0x32a5705f, v17
	v_sub_f32_e32 v21, v21, v43
	v_add_f32_e32 v21, v21, v32
	v_exp_f32_e32 v21, v21
	v_cvt_i32_f32_e32 v32, v43
	v_mul_f32_e32 v43, v70, v20
	v_ldexp_f32 v21, v21, v32
	v_cndmask_b32_e64 v21, 0, v21, s[0:1]
	v_cmp_nlt_f32_e64 s[0:1], s7, v17
	v_cndmask_b32_e64 v17, v72, v21, s[0:1]
	v_fmac_f32_e32 v56, v67, v17
	v_mul_f32_e32 v17, v31, v3
	v_mul_f32_e32 v18, 0x3fb8aa3b, v17
	v_fmac_f32_e32 v71, v22, v56
	v_fma_f32 v21, v17, s4, -v18
	v_rndne_f32_e32 v22, v18
	v_fmac_f32_e32 v21, 0x32a5705f, v17
	v_sub_f32_e32 v18, v18, v22
	v_add_f32_e32 v18, v18, v21
	v_exp_f32_e32 v18, v18
	v_cvt_i32_f32_e32 v21, v22
	v_cmp_ngt_f32_e64 s[0:1], s5, v17
	v_ldexp_f32 v18, v18, v21
	v_cndmask_b32_e64 v18, 0, v18, s[0:1]
	v_cmp_nlt_f32_e64 s[0:1], s7, v17
	v_cndmask_b32_e64 v17, v72, v18, s[0:1]
	v_fmac_f32_e32 v57, v68, v17
	v_mul_f32_e32 v17, v31, v4
	v_mul_f32_e32 v18, 0x3fb8aa3b, v17
	v_fma_f32 v19, v17, s4, -v18
	v_rndne_f32_e32 v21, v18
	v_fmac_f32_e32 v19, 0x32a5705f, v17
	v_sub_f32_e32 v18, v18, v21
	v_add_f32_e32 v18, v18, v19
	v_exp_f32_e32 v18, v18
	v_cvt_i32_f32_e32 v19, v21
	v_cmp_ngt_f32_e64 s[0:1], s5, v17
	v_fmac_f32_e32 v71, v23, v57
	v_ldexp_f32 v18, v18, v19
	v_cndmask_b32_e64 v18, 0, v18, s[0:1]
	v_cmp_nlt_f32_e64 s[0:1], s7, v17
	v_cndmask_b32_e64 v17, v72, v18, s[0:1]
	v_mad_i64_i32 v[31:32], s[0:1], s2, 20, v[29:30]
	v_fmac_f32_e32 v43, v69, v17
	v_fmac_f32_e32 v71, v24, v43
	global_store_dword v[31:32], v71, off
	s_waitcnt vmcnt(0)
	s_barrier
	s_and_saveexec_b64 s[0:1], vcc
	s_cbranch_execz .LBB9_26
; %bb.25:
	v_mad_i64_i32 v[17:18], s[4:5], s18, 24, v[35:36]
	v_mad_i64_i32 v[19:20], s[4:5], s20, 24, v[37:38]
	global_load_dword v21, v[17:18], off
	global_load_dword v22, v[19:20], off
	s_waitcnt vmcnt(1)
	ds_write_b32 v0, v21
	s_waitcnt vmcnt(0)
	ds_write_b32 v41, v22
.LBB9_26:
	s_or_b64 exec, exec, s[0:1]
	v_mov_b32_e32 v17, s29
	v_add_co_u32_e64 v27, s[0:1], s28, v27
	v_addc_co_u32_e64 v28, s[0:1], v28, v17, s[0:1]
	s_waitcnt lgkmcnt(0)
	s_barrier
	global_load_dword v58, v[27:28], off
	s_mov_b32 s0, 0x41a00000
	s_waitcnt vmcnt(0)
	v_cmp_ge_f32_e64 s[0:1], s0, v58
	s_and_saveexec_b64 s[4:5], s[0:1]
	s_cbranch_execz .LBB9_28
; %bb.27:
	v_mul_f32_e32 v17, 0x3fb8aa3b, v58
	s_mov_b32 s0, 0x3fb8aa3b
	v_rndne_f32_e32 v18, v17
	v_sub_f32_e32 v19, v17, v18
	v_fma_f32 v17, v58, s0, -v17
	v_fmac_f32_e32 v17, 0x32a5705f, v58
	v_add_f32_e32 v17, v19, v17
	v_exp_f32_e32 v17, v17
	v_cvt_i32_f32_e32 v18, v18
	s_mov_b32 s0, 0xc2ce8ed0
	v_cmp_ngt_f32_e64 s[0:1], s0, v58
	v_mov_b32_e32 v19, 0x7f800000
	v_ldexp_f32 v17, v17, v18
	v_cndmask_b32_e64 v17, 0, v17, s[0:1]
	s_mov_b32 s0, 0x42b17218
	v_cmp_nlt_f32_e64 s[0:1], s0, v58
	v_cndmask_b32_e64 v20, v19, v17, s[0:1]
	v_add_f32_e32 v21, 1.0, v20
	v_cvt_f64_f32_e32 v[17:18], v21
	v_add_f32_e32 v22, -1.0, v21
	v_sub_f32_e32 v23, v22, v21
	v_sub_f32_e32 v22, v20, v22
	v_frexp_exp_i32_f64_e32 v17, v[17:18]
	v_add_f32_e32 v18, 1.0, v23
	v_add_f32_e32 v18, v22, v18
	v_frexp_mant_f32_e32 v22, v21
	s_mov_b32 s0, 0x3f2aaaab
	v_cmp_gt_f32_e64 s[0:1], s0, v22
	s_mov_b32 s7, 0x7f800000
	v_subbrev_co_u32_e64 v17, s[0:1], 0, v17, s[0:1]
	v_sub_u32_e32 v22, 0, v17
	v_ldexp_f32 v21, v21, v22
	v_ldexp_f32 v18, v18, v22
	v_add_f32_e32 v22, -1.0, v21
	v_add_f32_e32 v58, 1.0, v21
	v_add_f32_e32 v23, 1.0, v22
	v_add_f32_e32 v59, -1.0, v58
	v_sub_f32_e32 v23, v21, v23
	v_sub_f32_e32 v21, v21, v59
	v_add_f32_e32 v23, v18, v23
	v_add_f32_e32 v18, v18, v21
	;; [unrolled: 1-line block ×3, first 2 shown]
	v_rcp_f32_e32 v59, v21
	v_add_f32_e32 v24, v22, v23
	v_sub_f32_e32 v22, v22, v24
	v_add_f32_e32 v22, v23, v22
	v_sub_f32_e32 v23, v58, v21
	v_add_f32_e32 v18, v18, v23
	v_mul_f32_e32 v23, v24, v59
	v_mul_f32_e32 v58, v21, v23
	v_fma_f32 v60, v23, v21, -v58
	v_fmac_f32_e32 v60, v23, v18
	v_add_f32_e32 v61, v58, v60
	v_sub_f32_e32 v62, v24, v61
	v_sub_f32_e32 v24, v24, v62
	;; [unrolled: 1-line block ×4, first 2 shown]
	v_add_f32_e32 v22, v22, v24
	v_sub_f32_e32 v24, v58, v60
	v_add_f32_e32 v22, v24, v22
	v_add_f32_e32 v24, v62, v22
	v_mul_f32_e32 v58, v59, v24
	v_mul_f32_e32 v60, v21, v58
	v_fma_f32 v21, v58, v21, -v60
	v_fmac_f32_e32 v21, v58, v18
	v_sub_f32_e32 v18, v62, v24
	v_add_f32_e32 v18, v22, v18
	v_add_f32_e32 v22, v60, v21
	v_sub_f32_e32 v61, v24, v22
	v_sub_f32_e32 v24, v24, v61
	;; [unrolled: 1-line block ×4, first 2 shown]
	v_add_f32_e32 v18, v18, v22
	v_sub_f32_e32 v21, v60, v21
	v_add_f32_e32 v18, v21, v18
	v_add_f32_e32 v21, v23, v58
	;; [unrolled: 1-line block ×3, first 2 shown]
	v_sub_f32_e32 v22, v21, v23
	v_mul_f32_e32 v18, v59, v18
	v_sub_f32_e32 v22, v58, v22
	v_add_f32_e32 v18, v22, v18
	v_cvt_f32_i32_e32 v17, v17
	v_add_f32_e32 v22, v21, v18
	v_mul_f32_e32 v23, v22, v22
	v_mov_b32_e32 v24, 0x3ecc95a3
	v_fmac_f32_e32 v24, 0x3e9b6dac, v23
	v_mov_b32_e32 v58, 0x3f2aaada
	v_fmac_f32_e32 v58, v23, v24
	s_mov_b32 s0, 0x3f317218
	v_mul_f32_e32 v24, 0x3f317218, v17
	v_fma_f32 v59, v17, s0, -v24
	v_fmac_f32_e32 v59, 0xb102e308, v17
	v_sub_f32_e32 v17, v22, v21
	v_sub_f32_e32 v17, v18, v17
	v_add_f32_e32 v18, v24, v59
	v_sub_f32_e32 v21, v18, v24
	v_ldexp_f32 v24, v22, 1
	v_mul_f32_e32 v22, v22, v23
	v_mul_f32_e32 v22, v22, v58
	v_add_f32_e32 v23, v24, v22
	v_sub_f32_e32 v24, v23, v24
	v_ldexp_f32 v17, v17, 1
	v_sub_f32_e32 v22, v22, v24
	v_add_f32_e32 v17, v17, v22
	v_add_f32_e32 v22, v23, v17
	v_sub_f32_e32 v23, v22, v23
	v_sub_f32_e32 v17, v17, v23
	v_add_f32_e32 v23, v18, v22
	v_sub_f32_e32 v24, v23, v18
	v_sub_f32_e32 v58, v23, v24
	;; [unrolled: 1-line block ×5, first 2 shown]
	v_add_f32_e32 v18, v22, v18
	v_add_f32_e32 v22, v21, v17
	v_sub_f32_e32 v24, v22, v21
	v_sub_f32_e32 v58, v22, v24
	;; [unrolled: 1-line block ×4, first 2 shown]
	v_add_f32_e32 v18, v22, v18
	v_add_f32_e32 v17, v17, v21
	;; [unrolled: 1-line block ×3, first 2 shown]
	v_sub_f32_e32 v22, v21, v23
	v_sub_f32_e32 v18, v18, v22
	v_add_f32_e32 v17, v17, v18
	v_add_f32_e32 v17, v21, v17
	v_cmp_neq_f32_e64 s[0:1], s7, v20
	v_cndmask_b32_e64 v17, v19, v17, s[0:1]
	s_mov_b32 s0, 0x33800000
	v_cmp_gt_f32_e64 s[0:1], s0, v20
	v_cndmask_b32_e64 v58, v17, v20, s[0:1]
.LBB9_28:
	s_or_b64 exec, exec, s[4:5]
	v_add_co_u32_e64 v17, s[0:1], s30, v25
	v_mov_b32_e32 v18, s31
	v_addc_co_u32_e64 v18, s[0:1], v26, v18, s[0:1]
	global_load_dword v17, v[17:18], off
	s_mov_b32 s4, 0x3fb8aa3b
	s_mov_b32 s5, 0xc2ce8ed0
	;; [unrolled: 1-line block ×3, first 2 shown]
	v_mov_b32_e32 v61, 0x7f800000
	v_mov_b32_e32 v62, 0
	s_waitcnt vmcnt(0)
	v_mul_f32_e32 v59, v58, v17
	v_mul_f32_e32 v17, v58, v13
	;; [unrolled: 1-line block ×3, first 2 shown]
	v_fma_f32 v19, v17, s4, -v18
	v_rndne_f32_e32 v20, v18
	v_fmac_f32_e32 v19, 0x32a5705f, v17
	v_sub_f32_e32 v18, v18, v20
	v_add_f32_e32 v18, v18, v19
	v_exp_f32_e32 v18, v18
	v_cvt_i32_f32_e32 v19, v20
	v_cmp_ngt_f32_e64 s[0:1], s5, v17
	v_ldexp_f32 v18, v18, v19
	v_cndmask_b32_e64 v18, 0, v18, s[0:1]
	v_cmp_nlt_f32_e64 s[0:1], s7, v17
	v_cndmask_b32_e64 v26, v61, v18, s[0:1]
	ds_read_b128 v[63:66], v62
	ds_read_b128 v[67:70], v62 offset:16
	ds_read_b128 v[21:24], v62 offset:32
	ds_read_b128 v[17:20], v62 offset:48
	ds_read_b128 v[71:74], v62 offset:64
	s_waitcnt lgkmcnt(4)
	v_mul_f32_e32 v25, v59, v63
	v_fmac_f32_e32 v25, v42, v26
	v_mul_f32_e32 v26, v58, v14
	v_mul_f32_e32 v42, 0x3fb8aa3b, v26
	s_waitcnt lgkmcnt(0)
	v_fma_f32 v60, v71, v25, 0
	v_fma_f32 v63, v26, s4, -v42
	v_rndne_f32_e32 v71, v42
	v_fmac_f32_e32 v63, 0x32a5705f, v26
	v_sub_f32_e32 v42, v42, v71
	v_add_f32_e32 v42, v42, v63
	v_exp_f32_e32 v42, v42
	v_cvt_i32_f32_e32 v63, v71
	v_cmp_ngt_f32_e64 s[0:1], s5, v26
	v_mul_f32_e32 v17, v59, v17
	v_mul_f32_e32 v18, v59, v18
	v_ldexp_f32 v42, v42, v63
	v_cndmask_b32_e64 v42, 0, v42, s[0:1]
	v_cmp_nlt_f32_e64 s[0:1], s7, v26
	v_cndmask_b32_e64 v42, v61, v42, s[0:1]
	v_mul_f32_e32 v26, v59, v64
	v_fmac_f32_e32 v26, v44, v42
	v_mul_f32_e32 v42, v58, v15
	v_mul_f32_e32 v44, 0x3fb8aa3b, v42
	v_fma_f32 v63, v42, s4, -v44
	v_rndne_f32_e32 v64, v44
	v_fmac_f32_e32 v63, 0x32a5705f, v42
	v_sub_f32_e32 v44, v44, v64
	v_add_f32_e32 v44, v44, v63
	v_exp_f32_e32 v44, v44
	v_cvt_i32_f32_e32 v63, v64
	v_cmp_ngt_f32_e64 s[0:1], s5, v42
	v_fmac_f32_e32 v60, v72, v26
	v_mul_f32_e32 v19, v59, v19
	v_ldexp_f32 v44, v44, v63
	v_cndmask_b32_e64 v44, 0, v44, s[0:1]
	v_cmp_nlt_f32_e64 s[0:1], s7, v42
	v_cndmask_b32_e64 v44, v61, v44, s[0:1]
	v_mul_f32_e32 v42, v59, v65
	v_fmac_f32_e32 v42, v45, v44
	v_mul_f32_e32 v44, v58, v16
	v_mul_f32_e32 v45, 0x3fb8aa3b, v44
	v_fma_f32 v63, v44, s4, -v45
	v_rndne_f32_e32 v64, v45
	v_fmac_f32_e32 v63, 0x32a5705f, v44
	v_sub_f32_e32 v45, v45, v64
	v_add_f32_e32 v45, v45, v63
	v_exp_f32_e32 v45, v45
	v_cvt_i32_f32_e32 v63, v64
	v_cmp_ngt_f32_e64 s[0:1], s5, v44
	v_fmac_f32_e32 v60, v73, v42
	;; [unrolled: 18-line block ×3, first 2 shown]
	v_ldexp_f32 v46, v46, v63
	ds_read_b128 v[63:66], v62 offset:80
	v_cndmask_b32_e64 v46, 0, v46, s[0:1]
	v_cmp_nlt_f32_e64 s[0:1], s7, v45
	v_cndmask_b32_e64 v46, v61, v46, s[0:1]
	v_mul_f32_e32 v45, v59, v67
	v_fmac_f32_e32 v45, v47, v46
	v_mul_f32_e32 v46, v58, v10
	v_mul_f32_e32 v47, 0x3fb8aa3b, v46
	s_waitcnt lgkmcnt(0)
	v_fmac_f32_e32 v60, v63, v45
	v_fma_f32 v63, v46, s4, -v47
	v_rndne_f32_e32 v67, v47
	v_fmac_f32_e32 v63, 0x32a5705f, v46
	v_sub_f32_e32 v47, v47, v67
	v_add_f32_e32 v47, v47, v63
	v_exp_f32_e32 v47, v47
	v_cvt_i32_f32_e32 v63, v67
	v_cmp_ngt_f32_e64 s[0:1], s5, v46
	v_ldexp_f32 v47, v47, v63
	v_cndmask_b32_e64 v47, 0, v47, s[0:1]
	v_cmp_nlt_f32_e64 s[0:1], s7, v46
	v_cndmask_b32_e64 v47, v61, v47, s[0:1]
	v_mul_f32_e32 v46, v59, v68
	v_fmac_f32_e32 v46, v48, v47
	v_mul_f32_e32 v47, v58, v11
	v_mul_f32_e32 v48, 0x3fb8aa3b, v47
	v_fmac_f32_e32 v60, v64, v46
	v_fma_f32 v63, v47, s4, -v48
	v_rndne_f32_e32 v64, v48
	v_fmac_f32_e32 v63, 0x32a5705f, v47
	v_sub_f32_e32 v48, v48, v64
	v_add_f32_e32 v48, v48, v63
	v_exp_f32_e32 v48, v48
	v_cvt_i32_f32_e32 v63, v64
	v_cmp_ngt_f32_e64 s[0:1], s5, v47
	v_ldexp_f32 v48, v48, v63
	v_cndmask_b32_e64 v48, 0, v48, s[0:1]
	v_cmp_nlt_f32_e64 s[0:1], s7, v47
	v_cndmask_b32_e64 v48, v61, v48, s[0:1]
	v_mul_f32_e32 v47, v59, v69
	v_fmac_f32_e32 v47, v49, v48
	v_mul_f32_e32 v48, v58, v12
	v_mul_f32_e32 v49, 0x3fb8aa3b, v48
	v_fma_f32 v63, v48, s4, -v49
	v_rndne_f32_e32 v64, v49
	v_fmac_f32_e32 v63, 0x32a5705f, v48
	v_sub_f32_e32 v49, v49, v64
	v_add_f32_e32 v49, v49, v63
	v_exp_f32_e32 v49, v49
	v_cvt_i32_f32_e32 v63, v64
	v_cmp_ngt_f32_e64 s[0:1], s5, v48
	v_fmac_f32_e32 v60, v65, v47
	v_ldexp_f32 v49, v49, v63
	v_cndmask_b32_e64 v49, 0, v49, s[0:1]
	v_cmp_nlt_f32_e64 s[0:1], s7, v48
	v_cndmask_b32_e64 v49, v61, v49, s[0:1]
	v_mul_f32_e32 v48, v59, v70
	v_fmac_f32_e32 v48, v50, v49
	v_mul_f32_e32 v49, v58, v5
	v_mul_f32_e32 v50, 0x3fb8aa3b, v49
	v_fma_f32 v63, v49, s4, -v50
	v_rndne_f32_e32 v64, v50
	v_fmac_f32_e32 v63, 0x32a5705f, v49
	v_sub_f32_e32 v50, v50, v64
	v_add_f32_e32 v50, v50, v63
	v_exp_f32_e32 v50, v50
	v_cvt_i32_f32_e32 v63, v64
	v_fmac_f32_e32 v60, v66, v48
	v_cmp_ngt_f32_e64 s[0:1], s5, v49
	v_ldexp_f32 v50, v50, v63
	ds_read_b128 v[63:66], v62 offset:96
	v_cndmask_b32_e64 v50, 0, v50, s[0:1]
	v_cmp_nlt_f32_e64 s[0:1], s7, v49
	v_cndmask_b32_e64 v50, v61, v50, s[0:1]
	v_mul_f32_e32 v49, v59, v21
	v_mul_f32_e32 v21, v58, v6
	v_fmac_f32_e32 v49, v51, v50
	v_mul_f32_e32 v50, 0x3fb8aa3b, v21
	s_waitcnt lgkmcnt(0)
	v_fmac_f32_e32 v60, v63, v49
	v_fma_f32 v51, v21, s4, -v50
	v_rndne_f32_e32 v63, v50
	v_fmac_f32_e32 v51, 0x32a5705f, v21
	v_sub_f32_e32 v50, v50, v63
	v_add_f32_e32 v50, v50, v51
	v_exp_f32_e32 v50, v50
	v_cvt_i32_f32_e32 v51, v63
	v_cmp_ngt_f32_e64 s[0:1], s5, v21
	v_ldexp_f32 v50, v50, v51
	v_cndmask_b32_e64 v50, 0, v50, s[0:1]
	v_cmp_nlt_f32_e64 s[0:1], s7, v21
	v_cndmask_b32_e64 v50, v61, v50, s[0:1]
	v_mul_f32_e32 v21, v59, v22
	v_mul_f32_e32 v22, v58, v7
	v_fmac_f32_e32 v21, v52, v50
	v_mul_f32_e32 v50, 0x3fb8aa3b, v22
	v_fma_f32 v51, v22, s4, -v50
	v_rndne_f32_e32 v52, v50
	v_fmac_f32_e32 v51, 0x32a5705f, v22
	v_sub_f32_e32 v50, v50, v52
	v_add_f32_e32 v50, v50, v51
	v_exp_f32_e32 v50, v50
	v_cvt_i32_f32_e32 v51, v52
	v_cmp_ngt_f32_e64 s[0:1], s5, v22
	v_fmac_f32_e32 v60, v64, v21
	v_ldexp_f32 v50, v50, v51
	v_cndmask_b32_e64 v50, 0, v50, s[0:1]
	v_cmp_nlt_f32_e64 s[0:1], s7, v22
	v_cndmask_b32_e64 v50, v61, v50, s[0:1]
	v_mul_f32_e32 v22, v59, v23
	v_mul_f32_e32 v23, v58, v8
	v_fmac_f32_e32 v22, v53, v50
	v_mul_f32_e32 v50, 0x3fb8aa3b, v23
	v_fma_f32 v51, v23, s4, -v50
	v_rndne_f32_e32 v52, v50
	v_fmac_f32_e32 v51, 0x32a5705f, v23
	v_sub_f32_e32 v50, v50, v52
	v_add_f32_e32 v50, v50, v51
	v_exp_f32_e32 v50, v50
	v_cvt_i32_f32_e32 v51, v52
	v_cmp_ngt_f32_e64 s[0:1], s5, v23
	v_fmac_f32_e32 v60, v65, v22
	;; [unrolled: 17-line block ×3, first 2 shown]
	v_ldexp_f32 v50, v50, v51
	v_cndmask_b32_e64 v50, 0, v50, s[0:1]
	v_cmp_nlt_f32_e64 s[0:1], s7, v24
	v_cndmask_b32_e64 v24, v61, v50, s[0:1]
	ds_read_b128 v[50:53], v62 offset:112
	v_fmac_f32_e32 v17, v55, v24
	v_mul_f32_e32 v24, v58, v2
	v_cmp_ngt_f32_e64 s[0:1], s5, v24
	s_waitcnt lgkmcnt(0)
	v_fmac_f32_e32 v60, v50, v17
	v_mul_f32_e32 v50, 0x3fb8aa3b, v24
	v_fma_f32 v54, v24, s4, -v50
	v_rndne_f32_e32 v55, v50
	v_fmac_f32_e32 v54, 0x32a5705f, v24
	v_sub_f32_e32 v50, v50, v55
	v_add_f32_e32 v50, v50, v54
	v_exp_f32_e32 v50, v50
	v_cvt_i32_f32_e32 v54, v55
	v_ldexp_f32 v50, v50, v54
	v_cndmask_b32_e64 v50, 0, v50, s[0:1]
	v_cmp_nlt_f32_e64 s[0:1], s7, v24
	v_cndmask_b32_e64 v24, v61, v50, s[0:1]
	v_fmac_f32_e32 v18, v56, v24
	v_mul_f32_e32 v24, v58, v3
	v_mul_f32_e32 v50, 0x3fb8aa3b, v24
	v_fmac_f32_e32 v60, v51, v18
	v_fma_f32 v51, v24, s4, -v50
	v_rndne_f32_e32 v54, v50
	v_fmac_f32_e32 v51, 0x32a5705f, v24
	v_sub_f32_e32 v50, v50, v54
	v_add_f32_e32 v50, v50, v51
	v_exp_f32_e32 v50, v50
	v_cvt_i32_f32_e32 v51, v54
	v_cmp_ngt_f32_e64 s[0:1], s5, v24
	v_ldexp_f32 v50, v50, v51
	v_cndmask_b32_e64 v50, 0, v50, s[0:1]
	v_cmp_nlt_f32_e64 s[0:1], s7, v24
	v_cndmask_b32_e64 v24, v61, v50, s[0:1]
	v_fmac_f32_e32 v19, v57, v24
	v_mul_f32_e32 v24, v58, v4
	v_mul_f32_e32 v50, 0x3fb8aa3b, v24
	v_fmac_f32_e32 v60, v52, v19
	v_fma_f32 v51, v24, s4, -v50
	v_rndne_f32_e32 v52, v50
	v_fmac_f32_e32 v51, 0x32a5705f, v24
	v_sub_f32_e32 v50, v50, v52
	v_add_f32_e32 v50, v50, v51
	v_exp_f32_e32 v50, v50
	v_cvt_i32_f32_e32 v51, v52
	v_cmp_ngt_f32_e64 s[0:1], s5, v24
	s_lshl_b64 s[4:5], s[2:3], 2
	v_ldexp_f32 v50, v50, v51
	v_cndmask_b32_e64 v50, 0, v50, s[0:1]
	v_cmp_nlt_f32_e64 s[0:1], s7, v24
	v_cndmask_b32_e64 v24, v61, v50, s[0:1]
	v_fmac_f32_e32 v20, v43, v24
	v_add_co_u32_e64 v31, s[0:1], s4, v31
	v_mov_b32_e32 v24, s5
	v_fmac_f32_e32 v60, v53, v20
	v_addc_co_u32_e64 v32, s[0:1], v32, v24, s[0:1]
	global_store_dword v[31:32], v60, off
	s_waitcnt vmcnt(0)
	s_barrier
	s_and_saveexec_b64 s[0:1], vcc
	s_cbranch_execz .LBB9_30
; %bb.29:
	v_mad_i64_i32 v[31:32], s[4:5], s18, 28, v[35:36]
	v_mad_i64_i32 v[35:36], s[4:5], s20, 28, v[37:38]
	global_load_dword v24, v[31:32], off
	global_load_dword v37, v[35:36], off
	s_waitcnt vmcnt(1)
	ds_write_b32 v0, v24
	s_waitcnt vmcnt(0)
	ds_write_b32 v41, v37
.LBB9_30:
	s_or_b64 exec, exec, s[0:1]
	v_mov_b32_e32 v0, s29
	v_add_co_u32_e32 v27, vcc, s28, v27
	v_addc_co_u32_e32 v28, vcc, v28, v0, vcc
	s_waitcnt lgkmcnt(0)
	s_barrier
	global_load_dword v0, v[27:28], off
	s_mov_b32 s0, 0x41a00000
	s_waitcnt vmcnt(0)
	v_cmp_ge_f32_e32 vcc, s0, v0
	s_and_saveexec_b64 s[0:1], vcc
	s_cbranch_execz .LBB9_32
; %bb.31:
	v_mul_f32_e32 v24, 0x3fb8aa3b, v0
	s_mov_b32 s3, 0x3fb8aa3b
	v_rndne_f32_e32 v27, v24
	v_sub_f32_e32 v28, v24, v27
	v_fma_f32 v24, v0, s3, -v24
	v_fmac_f32_e32 v24, 0x32a5705f, v0
	v_add_f32_e32 v24, v28, v24
	v_exp_f32_e32 v24, v24
	v_cvt_i32_f32_e32 v27, v27
	s_mov_b32 s3, 0xc2ce8ed0
	v_cmp_ngt_f32_e32 vcc, s3, v0
	s_mov_b32 s3, 0x42b17218
	v_ldexp_f32 v24, v24, v27
	v_cndmask_b32_e32 v24, 0, v24, vcc
	v_mov_b32_e32 v31, 0x7f800000
	v_cmp_nlt_f32_e32 vcc, s3, v0
	v_cndmask_b32_e32 v0, v31, v24, vcc
	v_add_f32_e32 v24, 1.0, v0
	v_cvt_f64_f32_e32 v[27:28], v24
	v_add_f32_e32 v32, -1.0, v24
	v_sub_f32_e32 v35, v32, v24
	v_sub_f32_e32 v32, v0, v32
	v_frexp_exp_i32_f64_e32 v27, v[27:28]
	v_add_f32_e32 v28, 1.0, v35
	v_add_f32_e32 v28, v32, v28
	v_frexp_mant_f32_e32 v32, v24
	s_mov_b32 s4, 0x3f2aaaab
	v_cmp_gt_f32_e32 vcc, s4, v32
	s_mov_b32 s4, 0x3f317218
	s_mov_b32 s3, 0x7f800000
	v_subbrev_co_u32_e32 v27, vcc, 0, v27, vcc
	v_sub_u32_e32 v32, 0, v27
	v_ldexp_f32 v24, v24, v32
	v_ldexp_f32 v28, v28, v32
	v_add_f32_e32 v32, -1.0, v24
	v_add_f32_e32 v37, 1.0, v24
	v_add_f32_e32 v35, 1.0, v32
	v_add_f32_e32 v38, -1.0, v37
	v_sub_f32_e32 v35, v24, v35
	v_sub_f32_e32 v24, v24, v38
	v_add_f32_e32 v24, v28, v24
	v_add_f32_e32 v35, v28, v35
	;; [unrolled: 1-line block ×3, first 2 shown]
	v_rcp_f32_e32 v38, v28
	v_add_f32_e32 v36, v32, v35
	v_sub_f32_e32 v32, v32, v36
	v_add_f32_e32 v32, v35, v32
	v_sub_f32_e32 v35, v37, v28
	v_add_f32_e32 v24, v24, v35
	v_mul_f32_e32 v35, v36, v38
	v_mul_f32_e32 v37, v28, v35
	v_fma_f32 v41, v35, v28, -v37
	v_fmac_f32_e32 v41, v35, v24
	v_add_f32_e32 v43, v37, v41
	v_sub_f32_e32 v50, v36, v43
	v_sub_f32_e32 v36, v36, v50
	v_sub_f32_e32 v37, v43, v37
	v_sub_f32_e32 v36, v36, v43
	v_add_f32_e32 v32, v32, v36
	v_sub_f32_e32 v36, v37, v41
	v_add_f32_e32 v32, v36, v32
	v_add_f32_e32 v36, v50, v32
	v_mul_f32_e32 v37, v38, v36
	v_mul_f32_e32 v41, v28, v37
	v_fma_f32 v28, v37, v28, -v41
	v_fmac_f32_e32 v28, v37, v24
	v_sub_f32_e32 v24, v50, v36
	v_add_f32_e32 v24, v32, v24
	v_add_f32_e32 v32, v41, v28
	v_sub_f32_e32 v43, v36, v32
	v_sub_f32_e32 v36, v36, v43
	;; [unrolled: 1-line block ×4, first 2 shown]
	v_add_f32_e32 v24, v24, v32
	v_sub_f32_e32 v28, v41, v28
	v_add_f32_e32 v24, v28, v24
	v_add_f32_e32 v28, v35, v37
	;; [unrolled: 1-line block ×3, first 2 shown]
	v_sub_f32_e32 v32, v28, v35
	v_mul_f32_e32 v24, v38, v24
	v_sub_f32_e32 v32, v37, v32
	v_add_f32_e32 v24, v32, v24
	v_cvt_f32_i32_e32 v27, v27
	v_add_f32_e32 v32, v28, v24
	v_mul_f32_e32 v35, v32, v32
	v_mov_b32_e32 v36, 0x3ecc95a3
	v_fmac_f32_e32 v36, 0x3e9b6dac, v35
	v_mov_b32_e32 v37, 0x3f2aaada
	v_fmac_f32_e32 v37, v35, v36
	v_mul_f32_e32 v36, 0x3f317218, v27
	v_fma_f32 v38, v27, s4, -v36
	v_fmac_f32_e32 v38, 0xb102e308, v27
	v_sub_f32_e32 v27, v32, v28
	v_sub_f32_e32 v24, v24, v27
	v_add_f32_e32 v27, v36, v38
	v_sub_f32_e32 v28, v27, v36
	v_ldexp_f32 v36, v32, 1
	v_mul_f32_e32 v32, v32, v35
	v_mul_f32_e32 v32, v32, v37
	v_add_f32_e32 v35, v36, v32
	v_sub_f32_e32 v36, v35, v36
	v_ldexp_f32 v24, v24, 1
	v_sub_f32_e32 v32, v32, v36
	v_add_f32_e32 v24, v24, v32
	v_add_f32_e32 v32, v35, v24
	v_sub_f32_e32 v35, v32, v35
	v_sub_f32_e32 v24, v24, v35
	v_add_f32_e32 v35, v27, v32
	v_sub_f32_e32 v36, v35, v27
	v_sub_f32_e32 v37, v35, v36
	;; [unrolled: 1-line block ×5, first 2 shown]
	v_add_f32_e32 v27, v32, v27
	v_add_f32_e32 v32, v28, v24
	v_sub_f32_e32 v36, v32, v28
	v_sub_f32_e32 v37, v32, v36
	;; [unrolled: 1-line block ×4, first 2 shown]
	v_add_f32_e32 v27, v32, v27
	v_add_f32_e32 v24, v24, v28
	;; [unrolled: 1-line block ×3, first 2 shown]
	v_sub_f32_e32 v32, v28, v35
	v_sub_f32_e32 v27, v27, v32
	v_add_f32_e32 v24, v24, v27
	v_add_f32_e32 v24, v28, v24
	v_cmp_neq_f32_e32 vcc, s3, v0
	s_mov_b32 s3, 0x33800000
	v_cndmask_b32_e32 v24, v31, v24, vcc
	v_cmp_gt_f32_e32 vcc, s3, v0
	v_cndmask_b32_e32 v0, v24, v0, vcc
.LBB9_32:
	s_or_b64 exec, exec, s[0:1]
	v_mad_i64_i32 v[27:28], s[0:1], s26, 28, v[39:40]
	s_mov_b32 s1, 0x3fb8aa3b
	v_mul_f32_e32 v32, v0, v14
	global_load_dword v24, v[27:28], off
	v_mul_f32_e32 v27, v0, v13
	v_mul_f32_e32 v41, 0x3fb8aa3b, v27
	;; [unrolled: 1-line block ×4, first 2 shown]
	v_fma_f32 v69, v27, s1, -v41
	v_rndne_f32_e32 v70, v41
	v_mul_f32_e32 v40, v0, v16
	v_mul_f32_e32 v66, 0x3fb8aa3b, v39
	v_fma_f32 v71, v32, s1, -v43
	v_rndne_f32_e32 v72, v43
	v_fmac_f32_e32 v69, 0x32a5705f, v27
	v_sub_f32_e32 v41, v41, v70
	v_mul_f32_e32 v67, 0x3fb8aa3b, v40
	v_fma_f32 v73, v39, s1, -v66
	v_rndne_f32_e32 v74, v66
	v_fmac_f32_e32 v71, 0x32a5705f, v32
	v_sub_f32_e32 v43, v43, v72
	v_add_f32_e32 v41, v41, v69
	v_fma_f32 v75, v40, s1, -v67
	v_rndne_f32_e32 v76, v67
	v_cvt_i32_f32_e32 v70, v70
	v_fmac_f32_e32 v73, 0x32a5705f, v39
	v_sub_f32_e32 v66, v66, v74
	v_add_f32_e32 v43, v43, v71
	v_exp_f32_e32 v41, v41
	v_cvt_i32_f32_e32 v72, v72
	v_fmac_f32_e32 v75, 0x32a5705f, v40
	v_sub_f32_e32 v67, v67, v76
	v_add_f32_e32 v66, v66, v73
	v_exp_f32_e32 v43, v43
	v_cvt_i32_f32_e32 v74, v74
	v_add_f32_e32 v67, v67, v75
	v_exp_f32_e32 v66, v66
	s_mov_b32 s0, 0xc2ce8ed0
	v_cvt_i32_f32_e32 v76, v76
	v_exp_f32_e32 v67, v67
	v_ldexp_f32 v41, v41, v70
	v_cmp_ngt_f32_e32 vcc, s0, v27
	v_ldexp_f32 v43, v43, v72
	v_cndmask_b32_e32 v41, 0, v41, vcc
	v_cmp_ngt_f32_e32 vcc, s0, v32
	v_mul_f32_e32 v9, v0, v9
	v_ldexp_f32 v66, v66, v74
	v_cndmask_b32_e32 v43, 0, v43, vcc
	v_cmp_ngt_f32_e32 vcc, s0, v39
	s_mov_b32 s3, 0x42b17218
	v_mov_b32_e32 v31, 0
	v_mul_f32_e32 v68, 0x3fb8aa3b, v9
	v_ldexp_f32 v67, v67, v76
	v_cndmask_b32_e32 v66, 0, v66, vcc
	v_cmp_ngt_f32_e32 vcc, s0, v40
	v_mov_b32_e32 v28, 0x7f800000
	ds_read_b128 v[13:16], v31
	ds_read_b128 v[35:38], v31 offset:16
	ds_read_b128 v[50:53], v31 offset:32
	;; [unrolled: 1-line block ×3, first 2 shown]
	v_fma_f32 v77, v9, s1, -v68
	v_rndne_f32_e32 v78, v68
	v_cndmask_b32_e32 v67, 0, v67, vcc
	v_cmp_nlt_f32_e32 vcc, s3, v27
	v_fmac_f32_e32 v77, 0x32a5705f, v9
	v_cndmask_b32_e32 v27, v28, v41, vcc
	v_cmp_nlt_f32_e32 vcc, s3, v32
	v_cndmask_b32_e32 v32, v28, v43, vcc
	v_cmp_nlt_f32_e32 vcc, s3, v39
	;; [unrolled: 2-line block ×3, first 2 shown]
	v_cndmask_b32_e32 v40, v28, v67, vcc
	v_cmp_ngt_f32_e32 vcc, s0, v9
	v_mul_f32_e32 v10, v0, v10
	v_mul_f32_e32 v11, v0, v11
	;; [unrolled: 1-line block ×4, first 2 shown]
	ds_read_b128 v[58:61], v31 offset:64
	ds_read_b128 v[62:65], v31 offset:80
	v_mul_f32_e32 v6, v0, v6
	v_mul_f32_e32 v7, v0, v7
	;; [unrolled: 1-line block ×6, first 2 shown]
	s_add_u32 s4, s22, s36
	s_mul_i32 s5, s25, s6
	s_waitcnt vmcnt(0)
	v_mul_f32_e32 v41, v0, v24
	v_sub_f32_e32 v24, v68, v78
	s_waitcnt lgkmcnt(5)
	v_mul_f32_e32 v13, v41, v13
	v_add_f32_e32 v24, v24, v77
	v_fmac_f32_e32 v13, v25, v27
	v_exp_f32_e32 v24, v24
	v_cvt_i32_f32_e32 v25, v78
	v_mul_f32_e32 v14, v41, v14
	v_fmac_f32_e32 v14, v26, v32
	v_mul_f32_e32 v15, v41, v15
	v_ldexp_f32 v24, v24, v25
	v_cndmask_b32_e32 v24, 0, v24, vcc
	v_cmp_nlt_f32_e32 vcc, s3, v9
	v_mul_f32_e32 v9, 0x3fb8aa3b, v10
	v_fma_f32 v25, v10, s1, -v9
	v_rndne_f32_e32 v26, v9
	v_fmac_f32_e32 v25, 0x32a5705f, v10
	v_sub_f32_e32 v9, v9, v26
	v_add_f32_e32 v9, v9, v25
	v_exp_f32_e32 v25, v9
	v_cvt_i32_f32_e32 v26, v26
	v_cndmask_b32_e32 v24, v28, v24, vcc
	s_waitcnt lgkmcnt(4)
	v_mul_f32_e32 v9, v41, v35
	v_fmac_f32_e32 v9, v45, v24
	v_ldexp_f32 v24, v25, v26
	v_cmp_ngt_f32_e32 vcc, s0, v10
	v_cndmask_b32_e32 v24, 0, v24, vcc
	v_cmp_nlt_f32_e32 vcc, s3, v10
	v_mul_f32_e32 v10, 0x3fb8aa3b, v11
	v_fma_f32 v25, v11, s1, -v10
	v_rndne_f32_e32 v26, v10
	v_fmac_f32_e32 v25, 0x32a5705f, v11
	v_sub_f32_e32 v10, v10, v26
	v_add_f32_e32 v10, v10, v25
	v_exp_f32_e32 v25, v10
	v_cvt_i32_f32_e32 v26, v26
	v_cndmask_b32_e32 v24, v28, v24, vcc
	v_mul_f32_e32 v10, v41, v36
	v_fmac_f32_e32 v10, v46, v24
	v_ldexp_f32 v24, v25, v26
	v_cmp_ngt_f32_e32 vcc, s0, v11
	v_cndmask_b32_e32 v24, 0, v24, vcc
	v_cmp_nlt_f32_e32 vcc, s3, v11
	v_mul_f32_e32 v11, 0x3fb8aa3b, v12
	v_fma_f32 v25, v12, s1, -v11
	v_rndne_f32_e32 v26, v11
	v_fmac_f32_e32 v25, 0x32a5705f, v12
	v_sub_f32_e32 v11, v11, v26
	v_add_f32_e32 v11, v11, v25
	v_exp_f32_e32 v25, v11
	v_cvt_i32_f32_e32 v26, v26
	v_cndmask_b32_e32 v24, v28, v24, vcc
	v_mul_f32_e32 v11, v41, v37
	v_fmac_f32_e32 v11, v47, v24
	v_ldexp_f32 v24, v25, v26
	v_cmp_ngt_f32_e32 vcc, s0, v12
	v_cndmask_b32_e32 v24, 0, v24, vcc
	v_cmp_nlt_f32_e32 vcc, s3, v12
	v_mul_f32_e32 v12, 0x3fb8aa3b, v5
	v_fma_f32 v25, v5, s1, -v12
	v_rndne_f32_e32 v26, v12
	v_fmac_f32_e32 v25, 0x32a5705f, v5
	v_sub_f32_e32 v12, v12, v26
	v_add_f32_e32 v12, v12, v25
	v_exp_f32_e32 v25, v12
	v_cvt_i32_f32_e32 v26, v26
	s_waitcnt lgkmcnt(1)
	v_fma_f32 v32, v58, v13, 0
	v_cndmask_b32_e32 v24, v28, v24, vcc
	v_mul_f32_e32 v12, v41, v38
	v_mul_f32_e32 v36, 0x3fb8aa3b, v6
	v_fmac_f32_e32 v15, v42, v39
	v_fmac_f32_e32 v32, v59, v14
	v_mul_f32_e32 v16, v41, v16
	v_fmac_f32_e32 v12, v48, v24
	v_ldexp_f32 v24, v25, v26
	v_cmp_ngt_f32_e32 vcc, s0, v5
	v_fma_f32 v37, v6, s1, -v36
	v_rndne_f32_e32 v38, v36
	v_fmac_f32_e32 v32, v60, v15
	v_fmac_f32_e32 v16, v44, v40
	v_cndmask_b32_e32 v24, 0, v24, vcc
	v_cmp_nlt_f32_e32 vcc, s3, v5
	v_fmac_f32_e32 v37, 0x32a5705f, v6
	v_sub_f32_e32 v36, v36, v38
	v_fmac_f32_e32 v32, v61, v16
	v_cndmask_b32_e32 v35, v28, v24, vcc
	ds_read_b128 v[24:27], v31 offset:96
	v_add_f32_e32 v36, v36, v37
	s_waitcnt lgkmcnt(1)
	v_fmac_f32_e32 v32, v62, v9
	v_exp_f32_e32 v39, v36
	v_cvt_i32_f32_e32 v40, v38
	v_fmac_f32_e32 v32, v63, v10
	v_fmac_f32_e32 v32, v64, v11
	v_mul_f32_e32 v5, v41, v50
	v_fmac_f32_e32 v32, v65, v12
	v_fmac_f32_e32 v5, v49, v35
	ds_read_b128 v[35:38], v31 offset:112
	s_waitcnt lgkmcnt(1)
	v_fmac_f32_e32 v32, v24, v5
	v_ldexp_f32 v24, v39, v40
	v_cmp_ngt_f32_e32 vcc, s0, v6
	v_cndmask_b32_e32 v24, 0, v24, vcc
	v_cmp_nlt_f32_e32 vcc, s3, v6
	v_mul_f32_e32 v6, 0x3fb8aa3b, v7
	v_fma_f32 v31, v7, s1, -v6
	v_rndne_f32_e32 v39, v6
	v_fmac_f32_e32 v31, 0x32a5705f, v7
	v_sub_f32_e32 v6, v6, v39
	v_add_f32_e32 v6, v6, v31
	v_exp_f32_e32 v31, v6
	v_cvt_i32_f32_e32 v39, v39
	v_cndmask_b32_e32 v24, v28, v24, vcc
	v_mul_f32_e32 v6, v41, v51
	v_fmac_f32_e32 v6, v21, v24
	v_ldexp_f32 v21, v31, v39
	v_cmp_ngt_f32_e32 vcc, s0, v7
	v_cndmask_b32_e32 v21, 0, v21, vcc
	v_cmp_nlt_f32_e32 vcc, s3, v7
	v_mul_f32_e32 v7, 0x3fb8aa3b, v8
	v_fmac_f32_e32 v32, v25, v6
	v_fma_f32 v24, v8, s1, -v7
	v_rndne_f32_e32 v25, v7
	v_fmac_f32_e32 v24, 0x32a5705f, v8
	v_sub_f32_e32 v7, v7, v25
	v_add_f32_e32 v7, v7, v24
	v_exp_f32_e32 v24, v7
	v_cvt_i32_f32_e32 v25, v25
	v_cndmask_b32_e32 v21, v28, v21, vcc
	v_mul_f32_e32 v7, v41, v52
	v_fmac_f32_e32 v7, v22, v21
	v_ldexp_f32 v21, v24, v25
	v_cmp_ngt_f32_e32 vcc, s0, v8
	v_cndmask_b32_e32 v21, 0, v21, vcc
	v_cmp_nlt_f32_e32 vcc, s3, v8
	v_mul_f32_e32 v8, 0x3fb8aa3b, v1
	v_fma_f32 v22, v1, s1, -v8
	v_rndne_f32_e32 v24, v8
	v_fmac_f32_e32 v22, 0x32a5705f, v1
	v_sub_f32_e32 v8, v8, v24
	v_add_f32_e32 v8, v8, v22
	v_exp_f32_e32 v22, v8
	v_cvt_i32_f32_e32 v24, v24
	v_cndmask_b32_e32 v21, v28, v21, vcc
	v_mul_f32_e32 v8, v41, v53
	v_fmac_f32_e32 v8, v23, v21
	v_ldexp_f32 v21, v22, v24
	v_cmp_ngt_f32_e32 vcc, s0, v1
	v_cndmask_b32_e32 v21, 0, v21, vcc
	v_cmp_nlt_f32_e32 vcc, s3, v1
	v_mul_f32_e32 v1, 0x3fb8aa3b, v2
	;; [unrolled: 15-line block ×3, first 2 shown]
	v_fma_f32 v21, v3, s1, -v2
	v_rndne_f32_e32 v22, v2
	v_fmac_f32_e32 v21, 0x32a5705f, v3
	v_sub_f32_e32 v2, v2, v22
	v_add_f32_e32 v2, v2, v21
	v_exp_f32_e32 v21, v2
	v_cvt_i32_f32_e32 v22, v22
	v_cndmask_b32_e32 v17, v28, v17, vcc
	v_mul_f32_e32 v2, v41, v55
	v_fmac_f32_e32 v2, v18, v17
	v_ldexp_f32 v17, v21, v22
	v_cmp_ngt_f32_e32 vcc, s0, v3
	v_mul_f32_e32 v0, v0, v4
	v_cndmask_b32_e32 v17, 0, v17, vcc
	v_cmp_nlt_f32_e32 vcc, s3, v3
	v_mul_f32_e32 v3, 0x3fb8aa3b, v0
	v_fma_f32 v4, v0, s1, -v3
	v_rndne_f32_e32 v18, v3
	v_fmac_f32_e32 v4, 0x32a5705f, v0
	v_sub_f32_e32 v3, v3, v18
	v_add_f32_e32 v3, v3, v4
	v_exp_f32_e32 v4, v3
	v_cvt_i32_f32_e32 v18, v18
	v_fmac_f32_e32 v32, v26, v7
	s_addc_u32 s6, s23, s37
	v_fmac_f32_e32 v32, v27, v8
	v_cndmask_b32_e32 v17, v28, v17, vcc
	v_mul_f32_e32 v3, v41, v56
	v_ldexp_f32 v4, v4, v18
	v_cmp_ngt_f32_e32 vcc, s0, v0
	s_add_u32 s4, s4, s5
	s_waitcnt lgkmcnt(0)
	v_fmac_f32_e32 v32, v35, v1
	v_fmac_f32_e32 v3, v19, v17
	v_cndmask_b32_e32 v4, 0, v4, vcc
	v_cmp_nlt_f32_e32 vcc, s3, v0
	v_mad_i64_i32 v[17:18], s[0:1], s2, 28, v[29:30]
	s_addc_u32 s5, s6, 0
	v_fmac_f32_e32 v32, v36, v2
	v_cndmask_b32_e32 v0, v28, v4, vcc
	v_mul_f32_e32 v4, v41, v57
	v_fmac_f32_e32 v32, v37, v3
	v_fmac_f32_e32 v4, v20, v0
	s_add_u32 s0, s4, s34
	v_fmac_f32_e32 v32, v38, v4
	s_addc_u32 s1, s5, s33
	global_store_dword v[17:18], v32, off
	v_mov_b32_e32 v0, s1
	v_add_co_u32_e32 v17, vcc, s0, v33
	v_addc_co_u32_e32 v18, vcc, v0, v34, vcc
	s_waitcnt vmcnt(0)
	s_barrier
	global_store_dwordx4 v[17:18], v[13:16], off
	global_store_dwordx4 v[17:18], v[9:12], off offset:16
	global_store_dwordx4 v[17:18], v[5:8], off offset:32
	;; [unrolled: 1-line block ×3, first 2 shown]
	s_endpgm
	.section	.rodata,"a",@progbits
	.p2align	6, 0x0
	.amdhsa_kernel _Z12ssm_scan_f32ILm128ELm16ELm8EEvPKfS1_S1_S1_S1_S1_PKiPfiiiiiiiiiiilll
		.amdhsa_group_segment_fixed_size 128
		.amdhsa_private_segment_fixed_size 0
		.amdhsa_kernarg_size 136
		.amdhsa_user_sgpr_count 6
		.amdhsa_user_sgpr_private_segment_buffer 1
		.amdhsa_user_sgpr_dispatch_ptr 0
		.amdhsa_user_sgpr_queue_ptr 0
		.amdhsa_user_sgpr_kernarg_segment_ptr 1
		.amdhsa_user_sgpr_dispatch_id 0
		.amdhsa_user_sgpr_flat_scratch_init 0
		.amdhsa_user_sgpr_private_segment_size 0
		.amdhsa_uses_dynamic_stack 0
		.amdhsa_system_sgpr_private_segment_wavefront_offset 0
		.amdhsa_system_sgpr_workgroup_id_x 1
		.amdhsa_system_sgpr_workgroup_id_y 1
		.amdhsa_system_sgpr_workgroup_id_z 0
		.amdhsa_system_sgpr_workgroup_info 0
		.amdhsa_system_vgpr_workitem_id 0
		.amdhsa_next_free_vgpr 79
		.amdhsa_next_free_sgpr 44
		.amdhsa_reserve_vcc 1
		.amdhsa_reserve_flat_scratch 0
		.amdhsa_float_round_mode_32 0
		.amdhsa_float_round_mode_16_64 0
		.amdhsa_float_denorm_mode_32 3
		.amdhsa_float_denorm_mode_16_64 3
		.amdhsa_dx10_clamp 1
		.amdhsa_ieee_mode 1
		.amdhsa_fp16_overflow 0
		.amdhsa_exception_fp_ieee_invalid_op 0
		.amdhsa_exception_fp_denorm_src 0
		.amdhsa_exception_fp_ieee_div_zero 0
		.amdhsa_exception_fp_ieee_overflow 0
		.amdhsa_exception_fp_ieee_underflow 0
		.amdhsa_exception_fp_ieee_inexact 0
		.amdhsa_exception_int_div_zero 0
	.end_amdhsa_kernel
	.section	.text._Z12ssm_scan_f32ILm128ELm16ELm8EEvPKfS1_S1_S1_S1_S1_PKiPfiiiiiiiiiiilll,"axG",@progbits,_Z12ssm_scan_f32ILm128ELm16ELm8EEvPKfS1_S1_S1_S1_S1_PKiPfiiiiiiiiiiilll,comdat
.Lfunc_end9:
	.size	_Z12ssm_scan_f32ILm128ELm16ELm8EEvPKfS1_S1_S1_S1_S1_PKiPfiiiiiiiiiiilll, .Lfunc_end9-_Z12ssm_scan_f32ILm128ELm16ELm8EEvPKfS1_S1_S1_S1_S1_PKiPfiiiiiiiiiiilll
                                        ; -- End function
	.set _Z12ssm_scan_f32ILm128ELm16ELm8EEvPKfS1_S1_S1_S1_S1_PKiPfiiiiiiiiiiilll.num_vgpr, 79
	.set _Z12ssm_scan_f32ILm128ELm16ELm8EEvPKfS1_S1_S1_S1_S1_PKiPfiiiiiiiiiiilll.num_agpr, 0
	.set _Z12ssm_scan_f32ILm128ELm16ELm8EEvPKfS1_S1_S1_S1_S1_PKiPfiiiiiiiiiiilll.numbered_sgpr, 44
	.set _Z12ssm_scan_f32ILm128ELm16ELm8EEvPKfS1_S1_S1_S1_S1_PKiPfiiiiiiiiiiilll.num_named_barrier, 0
	.set _Z12ssm_scan_f32ILm128ELm16ELm8EEvPKfS1_S1_S1_S1_S1_PKiPfiiiiiiiiiiilll.private_seg_size, 0
	.set _Z12ssm_scan_f32ILm128ELm16ELm8EEvPKfS1_S1_S1_S1_S1_PKiPfiiiiiiiiiiilll.uses_vcc, 1
	.set _Z12ssm_scan_f32ILm128ELm16ELm8EEvPKfS1_S1_S1_S1_S1_PKiPfiiiiiiiiiiilll.uses_flat_scratch, 0
	.set _Z12ssm_scan_f32ILm128ELm16ELm8EEvPKfS1_S1_S1_S1_S1_PKiPfiiiiiiiiiiilll.has_dyn_sized_stack, 0
	.set _Z12ssm_scan_f32ILm128ELm16ELm8EEvPKfS1_S1_S1_S1_S1_PKiPfiiiiiiiiiiilll.has_recursion, 0
	.set _Z12ssm_scan_f32ILm128ELm16ELm8EEvPKfS1_S1_S1_S1_S1_PKiPfiiiiiiiiiiilll.has_indirect_call, 0
	.section	.AMDGPU.csdata,"",@progbits
; Kernel info:
; codeLenInByte = 21088
; TotalNumSgprs: 48
; NumVgprs: 79
; ScratchSize: 0
; MemoryBound: 0
; FloatMode: 240
; IeeeMode: 1
; LDSByteSize: 128 bytes/workgroup (compile time only)
; SGPRBlocks: 5
; VGPRBlocks: 19
; NumSGPRsForWavesPerEU: 48
; NumVGPRsForWavesPerEU: 79
; Occupancy: 3
; WaveLimiterHint : 1
; COMPUTE_PGM_RSRC2:SCRATCH_EN: 0
; COMPUTE_PGM_RSRC2:USER_SGPR: 6
; COMPUTE_PGM_RSRC2:TRAP_HANDLER: 0
; COMPUTE_PGM_RSRC2:TGID_X_EN: 1
; COMPUTE_PGM_RSRC2:TGID_Y_EN: 1
; COMPUTE_PGM_RSRC2:TGID_Z_EN: 0
; COMPUTE_PGM_RSRC2:TIDIG_COMP_CNT: 0
	.section	.text._Z12ssm_scan_f32ILm128ELm16ELm0EEvPKfS1_S1_S1_S1_S1_PKiPfiiiiiiiiiiilll,"axG",@progbits,_Z12ssm_scan_f32ILm128ELm16ELm0EEvPKfS1_S1_S1_S1_S1_PKiPfiiiiiiiiiiilll,comdat
	.protected	_Z12ssm_scan_f32ILm128ELm16ELm0EEvPKfS1_S1_S1_S1_S1_PKiPfiiiiiiiiiiilll ; -- Begin function _Z12ssm_scan_f32ILm128ELm16ELm0EEvPKfS1_S1_S1_S1_S1_PKiPfiiiiiiiiiiilll
	.globl	_Z12ssm_scan_f32ILm128ELm16ELm0EEvPKfS1_S1_S1_S1_S1_PKiPfiiiiiiiiiiilll
	.p2align	8
	.type	_Z12ssm_scan_f32ILm128ELm16ELm0EEvPKfS1_S1_S1_S1_S1_PKiPfiiiiiiiiiiilll,@function
_Z12ssm_scan_f32ILm128ELm16ELm0EEvPKfS1_S1_S1_S1_S1_PKiPfiiiiiiiiiiilll: ; @_Z12ssm_scan_f32ILm128ELm16ELm0EEvPKfS1_S1_S1_S1_S1_PKiPfiiiiiiiiiiilll
; %bb.0:
	s_load_dwordx16 s[8:23], s[4:5], 0x0
	s_load_dwordx8 s[24:31], s[4:5], 0x40
	s_mov_b32 s34, s7
	s_mov_b32 s7, 0
	s_lshl_b64 s[0:1], s[6:7], 2
	s_waitcnt lgkmcnt(0)
	s_add_u32 s0, s20, s0
	s_addc_u32 s1, s21, s1
	s_load_dword s0, s[0:1], 0x0
	s_mov_b32 s35, s7
	v_mov_b32_e32 v52, 0
	s_waitcnt lgkmcnt(0)
	s_mul_i32 s0, s0, s25
	s_ashr_i32 s1, s0, 31
	s_add_u32 s2, s8, s0
	s_addc_u32 s3, s9, s1
	s_lshl_b64 s[0:1], s[34:35], 7
	s_ashr_i32 s7, s24, 31
	s_mul_i32 s7, s0, s7
	s_mul_hi_u32 s8, s0, s24
	s_add_i32 s7, s8, s7
	s_lshr_b32 s8, s34, 25
	s_mul_i32 s8, s8, s24
	s_add_i32 s7, s7, s8
	s_mul_i32 s33, s0, s24
	s_add_u32 s2, s2, s33
	s_addc_u32 s3, s3, s7
	s_ashr_i32 s8, s24, 2
	v_mul_lo_u32 v51, s8, v0
	v_mov_b32_e32 v1, s3
	v_lshlrev_b64 v[49:50], 2, v[51:52]
	v_add_co_u32_e32 v5, vcc, s2, v49
	v_addc_co_u32_e32 v6, vcc, v1, v50, vcc
	global_load_dwordx4 v[29:32], v[5:6], off
	global_load_dwordx4 v[25:28], v[5:6], off offset:16
	global_load_dwordx4 v[21:24], v[5:6], off offset:32
	;; [unrolled: 1-line block ×3, first 2 shown]
	s_load_dwordx2 s[8:9], s[4:5], 0x80
	s_load_dwordx4 s[36:39], s[4:5], 0x70
	s_waitcnt lgkmcnt(0)
	s_cmp_eq_u64 s[8:9], 0
	s_cbranch_scc1 .LBB10_7
; %bb.1:
	s_ashr_i32 s2, s30, 31
	s_mul_hi_u32 s3, s0, s30
	s_mul_i32 s2, s0, s2
	s_add_i32 s2, s3, s2
	s_mul_i32 s1, s1, s30
	s_add_i32 s2, s2, s1
	s_mul_i32 s0, s0, s30
	s_add_u32 s14, s14, s0
	s_addc_u32 s15, s15, s2
	s_ashr_i32 s0, s30, 2
	v_mul_lo_u32 v51, s0, v0
	v_mov_b32_e32 v7, s15
	s_load_dwordx4 s[0:3], s[4:5], 0x60
	s_waitcnt lgkmcnt(0)
	s_mul_hi_u32 s3, s6, s38
	v_lshlrev_b64 v[5:6], 2, v[51:52]
	s_ashr_i32 s20, s28, 2
	v_add_co_u32_e32 v33, vcc, s14, v5
	v_addc_co_u32_e32 v34, vcc, v7, v6, vcc
	global_load_dwordx4 v[5:8], v[33:34], off
	global_load_dwordx4 v[9:12], v[33:34], off offset:16
	global_load_dwordx4 v[13:16], v[33:34], off offset:32
	;; [unrolled: 1-line block ×3, first 2 shown]
	s_ashr_i32 s14, s1, 2
	s_mul_i32 s1, s6, s39
	s_add_i32 s1, s3, s1
	s_mul_i32 s3, s6, s38
	s_mul_i32 s4, s3, s9
	s_mul_hi_u32 s5, s3, s8
	s_mul_i32 s1, s1, s8
	s_add_i32 s4, s5, s4
	s_add_i32 s5, s4, s1
	s_mul_i32 s4, s3, s8
	s_lshl_b64 s[4:5], s[4:5], 2
	s_add_u32 s1, s22, s4
	s_addc_u32 s3, s23, s5
	s_lshl_b64 s[4:5], s[34:35], 9
	s_add_u32 s24, s1, s4
	s_addc_u32 s28, s3, s5
	s_mul_i32 s1, s2, s6
	s_add_u32 s2, s18, s1
	s_addc_u32 s3, s19, 0
	s_mul_i32 s0, s0, s6
	s_add_u32 s0, s16, s0
	s_addc_u32 s1, s17, 0
	s_mul_i32 s15, s29, s6
	s_add_u32 s12, s12, s15
	s_addc_u32 s13, s13, 0
	v_cmp_gt_u32_e32 vcc, 16, v0
	v_lshlrev_b32_e32 v0, 2, v0
	s_add_u32 s12, s12, s4
	v_mov_b32_e32 v33, s1
	v_add_co_u32_e64 v53, s[0:1], s0, v0
	s_addc_u32 s13, s13, s5
	s_mul_i32 s15, s27, s6
	v_addc_co_u32_e64 v54, s[0:1], 0, v33, s[0:1]
	s_add_u32 s10, s10, s15
	v_mov_b32_e32 v33, s3
	v_add_co_u32_e64 v55, s[0:1], s2, v0
	s_addc_u32 s11, s11, 0
	v_addc_co_u32_e64 v56, s[0:1], 0, v33, s[0:1]
	s_add_u32 s10, s10, s4
	v_mov_b32_e32 v33, s13
	v_add_co_u32_e64 v57, s[0:1], s12, v0
	s_addc_u32 s11, s11, s5
	v_addc_co_u32_e64 v58, s[0:1], 0, v33, s[0:1]
	v_mov_b32_e32 v33, s11
	v_add_co_u32_e64 v59, s[0:1], s10, v0
	s_ashr_i32 s16, s31, 2
	s_ashr_i32 s4, s26, 2
	v_addc_co_u32_e64 v60, s[0:1], 0, v33, s[0:1]
	s_ashr_i32 s17, s16, 31
	s_ashr_i32 s15, s14, 31
	;; [unrolled: 1-line block ×4, first 2 shown]
	s_bfe_i64 s[2:3], s[38:39], 0x200000
	v_mov_b32_e32 v33, s28
	v_add_co_u32_e64 v61, s[0:1], s24, v0
	v_add_u32_e32 v51, 64, v0
	v_addc_co_u32_e64 v62, s[0:1], 0, v33, s[0:1]
	s_lshl_b64 s[2:3], s[2:3], 2
	s_lshl_b64 s[4:5], s[4:5], 2
	s_lshl_b64 s[10:11], s[20:21], 2
	s_lshl_b64 s[12:13], s[14:15], 2
	s_lshl_b64 s[14:15], s[16:17], 2
	s_mov_b32 s18, 0x41a00000
	s_mov_b32 s19, 0x3fb8aa3b
	;; [unrolled: 1-line block ×6, first 2 shown]
	v_mov_b32_e32 v63, 0x3f2aaada
	s_mov_b32 s27, 0x3f317218
	s_mov_b32 s28, 0x33800000
	v_mov_b32_e32 v64, 0x7f800000
	s_and_saveexec_b64 s[0:1], vcc
	s_cbranch_execz .LBB10_3
.LBB10_2:
	global_load_dword v33, v[53:54], off
	global_load_dword v34, v[55:56], off
	s_waitcnt vmcnt(1)
	ds_write_b32 v0, v33
	s_waitcnt vmcnt(0)
	ds_write_b32 v51, v34
.LBB10_3:                               ; =>This Inner Loop Header: Depth=1
	s_or_b64 exec, exec, s[0:1]
	s_waitcnt vmcnt(0) lgkmcnt(0)
	s_barrier
	global_load_dword v65, v[57:58], off
	s_waitcnt vmcnt(0)
	v_cmp_ge_f32_e64 s[0:1], s18, v65
	s_and_saveexec_b64 s[16:17], s[0:1]
	s_cbranch_execz .LBB10_5
; %bb.4:                                ;   in Loop: Header=BB10_3 Depth=1
	v_mul_f32_e32 v33, 0x3fb8aa3b, v65
	v_rndne_f32_e32 v34, v33
	v_sub_f32_e32 v35, v33, v34
	v_fma_f32 v33, v65, s19, -v33
	v_fmac_f32_e32 v33, 0x32a5705f, v65
	v_add_f32_e32 v33, v35, v33
	v_cvt_i32_f32_e32 v34, v34
	v_exp_f32_e32 v33, v33
	v_cmp_ngt_f32_e64 s[0:1], s20, v65
	v_ldexp_f32 v33, v33, v34
	v_cndmask_b32_e64 v33, 0, v33, s[0:1]
	v_cmp_nlt_f32_e64 s[0:1], s21, v65
	v_cndmask_b32_e64 v35, v64, v33, s[0:1]
	v_add_f32_e32 v36, 1.0, v35
	v_cvt_f64_f32_e32 v[33:34], v36
	v_add_f32_e32 v37, -1.0, v36
	v_sub_f32_e32 v38, v37, v36
	v_sub_f32_e32 v37, v35, v37
	v_frexp_exp_i32_f64_e32 v33, v[33:34]
	v_frexp_mant_f32_e32 v34, v36
	v_cmp_gt_f32_e64 s[0:1], s26, v34
	v_add_f32_e32 v38, 1.0, v38
	v_add_f32_e32 v37, v37, v38
	v_subbrev_co_u32_e64 v33, s[0:1], 0, v33, s[0:1]
	v_sub_u32_e32 v34, 0, v33
	v_ldexp_f32 v36, v36, v34
	v_ldexp_f32 v34, v37, v34
	v_add_f32_e32 v37, -1.0, v36
	v_add_f32_e32 v40, 1.0, v36
	v_add_f32_e32 v38, 1.0, v37
	v_add_f32_e32 v41, -1.0, v40
	v_sub_f32_e32 v38, v36, v38
	v_sub_f32_e32 v36, v36, v41
	v_add_f32_e32 v38, v34, v38
	v_add_f32_e32 v34, v34, v36
	;; [unrolled: 1-line block ×3, first 2 shown]
	v_rcp_f32_e32 v41, v36
	v_add_f32_e32 v39, v37, v38
	v_sub_f32_e32 v37, v37, v39
	v_add_f32_e32 v37, v38, v37
	v_sub_f32_e32 v38, v40, v36
	v_add_f32_e32 v34, v34, v38
	v_mul_f32_e32 v38, v39, v41
	v_mul_f32_e32 v40, v36, v38
	v_fma_f32 v42, v38, v36, -v40
	v_fmac_f32_e32 v42, v38, v34
	v_add_f32_e32 v43, v40, v42
	v_sub_f32_e32 v44, v39, v43
	v_sub_f32_e32 v39, v39, v44
	;; [unrolled: 1-line block ×4, first 2 shown]
	v_add_f32_e32 v37, v37, v39
	v_sub_f32_e32 v39, v40, v42
	v_add_f32_e32 v37, v39, v37
	v_add_f32_e32 v39, v44, v37
	v_mul_f32_e32 v40, v41, v39
	v_mul_f32_e32 v42, v36, v40
	v_fma_f32 v36, v40, v36, -v42
	v_fmac_f32_e32 v36, v40, v34
	v_sub_f32_e32 v34, v44, v39
	v_add_f32_e32 v34, v37, v34
	v_add_f32_e32 v37, v42, v36
	v_sub_f32_e32 v43, v39, v37
	v_sub_f32_e32 v39, v39, v43
	;; [unrolled: 1-line block ×4, first 2 shown]
	v_add_f32_e32 v34, v34, v37
	v_sub_f32_e32 v36, v42, v36
	v_cvt_f32_i32_e32 v33, v33
	v_add_f32_e32 v34, v36, v34
	v_add_f32_e32 v36, v38, v40
	;; [unrolled: 1-line block ×3, first 2 shown]
	v_sub_f32_e32 v37, v36, v38
	v_mul_f32_e32 v34, v41, v34
	v_sub_f32_e32 v37, v40, v37
	v_add_f32_e32 v34, v37, v34
	v_mul_f32_e32 v40, 0x3f317218, v33
	v_add_f32_e32 v37, v36, v34
	v_fma_f32 v41, v33, s27, -v40
	v_mul_f32_e32 v38, v37, v37
	v_mov_b32_e32 v39, 0x3ecc95a3
	v_fmac_f32_e32 v41, 0xb102e308, v33
	v_sub_f32_e32 v33, v37, v36
	v_fmac_f32_e32 v39, 0x3e9b6dac, v38
	v_sub_f32_e32 v33, v34, v33
	v_add_f32_e32 v34, v40, v41
	v_fma_f32 v39, v38, v39, v63
	v_sub_f32_e32 v36, v34, v40
	v_ldexp_f32 v40, v37, 1
	v_mul_f32_e32 v37, v37, v38
	v_mul_f32_e32 v37, v37, v39
	v_add_f32_e32 v38, v40, v37
	v_sub_f32_e32 v39, v38, v40
	v_ldexp_f32 v33, v33, 1
	v_sub_f32_e32 v37, v37, v39
	v_add_f32_e32 v33, v33, v37
	v_add_f32_e32 v37, v38, v33
	v_sub_f32_e32 v38, v37, v38
	v_sub_f32_e32 v33, v33, v38
	v_add_f32_e32 v38, v34, v37
	v_sub_f32_e32 v39, v38, v34
	v_sub_f32_e32 v40, v38, v39
	;; [unrolled: 1-line block ×5, first 2 shown]
	v_add_f32_e32 v34, v37, v34
	v_add_f32_e32 v37, v36, v33
	v_sub_f32_e32 v39, v37, v36
	v_sub_f32_e32 v40, v37, v39
	;; [unrolled: 1-line block ×4, first 2 shown]
	v_add_f32_e32 v34, v37, v34
	v_add_f32_e32 v33, v33, v36
	;; [unrolled: 1-line block ×3, first 2 shown]
	v_sub_f32_e32 v37, v36, v38
	v_sub_f32_e32 v34, v34, v37
	v_add_f32_e32 v33, v33, v34
	v_add_f32_e32 v33, v36, v33
	v_cmp_neq_f32_e64 s[0:1], s24, v35
	v_cndmask_b32_e64 v33, v64, v33, s[0:1]
	v_cmp_gt_f32_e64 s[0:1], s28, v35
	v_cndmask_b32_e64 v65, v33, v35, s[0:1]
.LBB10_5:                               ;   in Loop: Header=BB10_3 Depth=1
	s_or_b64 exec, exec, s[16:17]
	global_load_dword v37, v[59:60], off
	v_mul_f32_e32 v38, v65, v5
	v_mul_f32_e32 v39, v65, v6
	;; [unrolled: 1-line block ×5, first 2 shown]
	v_fma_f32 v70, v38, s19, -v48
	v_rndne_f32_e32 v74, v48
	v_mul_f32_e32 v40, v65, v7
	v_mul_f32_e32 v68, 0x3fb8aa3b, v45
	v_fma_f32 v71, v39, s19, -v66
	v_rndne_f32_e32 v75, v66
	v_fmac_f32_e32 v70, 0x32a5705f, v38
	v_sub_f32_e32 v48, v48, v74
	v_mul_f32_e32 v67, 0x3fb8aa3b, v40
	v_fma_f32 v73, v45, s19, -v68
	v_rndne_f32_e32 v77, v68
	v_fmac_f32_e32 v71, 0x32a5705f, v39
	v_sub_f32_e32 v66, v66, v75
	v_add_f32_e32 v48, v48, v70
	v_fma_f32 v72, v40, s19, -v67
	v_rndne_f32_e32 v76, v67
	v_fmac_f32_e32 v73, 0x32a5705f, v45
	v_sub_f32_e32 v68, v68, v77
	v_cvt_i32_f32_e32 v74, v74
	v_add_f32_e32 v66, v66, v71
	v_exp_f32_e32 v48, v48
	v_fmac_f32_e32 v72, 0x32a5705f, v40
	v_sub_f32_e32 v67, v67, v76
	v_cvt_i32_f32_e32 v75, v75
	v_add_f32_e32 v68, v68, v73
	v_exp_f32_e32 v66, v66
	v_cvt_i32_f32_e32 v77, v77
	v_add_f32_e32 v67, v67, v72
	v_exp_f32_e32 v68, v68
	v_cvt_i32_f32_e32 v76, v76
	v_exp_f32_e32 v67, v67
	v_ldexp_f32 v48, v48, v74
	v_cmp_ngt_f32_e64 s[0:1], s20, v38
	v_ldexp_f32 v66, v66, v75
	v_cndmask_b32_e64 v48, 0, v48, s[0:1]
	v_cmp_ngt_f32_e64 s[0:1], s20, v39
	v_ldexp_f32 v68, v68, v77
	v_cndmask_b32_e64 v66, 0, v66, s[0:1]
	v_cmp_ngt_f32_e64 s[0:1], s20, v45
	v_ldexp_f32 v67, v67, v76
	v_cndmask_b32_e64 v68, 0, v68, s[0:1]
	v_cmp_ngt_f32_e64 s[0:1], s20, v40
	v_cndmask_b32_e64 v67, 0, v67, s[0:1]
	v_cmp_nlt_f32_e64 s[0:1], s21, v38
	ds_read_b128 v[33:36], v52
	ds_read_b128 v[41:44], v52 offset:16
	v_cndmask_b32_e64 v48, v64, v48, s[0:1]
	v_cmp_nlt_f32_e64 s[0:1], s21, v39
	v_mul_f32_e32 v46, v65, v9
	v_cndmask_b32_e64 v66, v64, v66, s[0:1]
	v_cmp_nlt_f32_e64 s[0:1], s21, v40
	v_mul_f32_e32 v69, 0x3fb8aa3b, v46
	v_cndmask_b32_e64 v67, v64, v67, s[0:1]
	v_cmp_nlt_f32_e64 s[0:1], s21, v45
	v_fma_f32 v78, v46, s19, -v69
	v_rndne_f32_e32 v79, v69
	v_cndmask_b32_e64 v45, v64, v68, s[0:1]
	v_mul_f32_e32 v47, v65, v10
	v_fmac_f32_e32 v78, 0x32a5705f, v46
	v_sub_f32_e32 v69, v69, v79
	v_add_f32_e32 v69, v69, v78
	v_cvt_i32_f32_e32 v79, v79
	v_exp_f32_e32 v69, v69
	v_cmp_ngt_f32_e64 s[0:1], s20, v46
	s_add_u32 s8, s8, -1
	s_addc_u32 s9, s9, -1
	v_ldexp_f32 v69, v69, v79
	s_cmp_eq_u64 s[8:9], 0
	s_waitcnt vmcnt(0)
	v_mul_f32_e32 v68, v65, v37
	s_waitcnt lgkmcnt(1)
	v_mul_f32_e32 v37, v68, v33
	v_mul_f32_e32 v38, v68, v34
	;; [unrolled: 1-line block ×3, first 2 shown]
	v_fmac_f32_e32 v37, v29, v48
	v_mul_f32_e32 v29, 0x3fb8aa3b, v47
	v_fmac_f32_e32 v38, v30, v66
	v_fmac_f32_e32 v39, v31, v67
	v_fma_f32 v30, v47, s19, -v29
	v_rndne_f32_e32 v31, v29
	v_fmac_f32_e32 v30, 0x32a5705f, v47
	v_sub_f32_e32 v29, v29, v31
	v_add_f32_e32 v29, v29, v30
	v_exp_f32_e32 v29, v29
	v_cvt_i32_f32_e32 v31, v31
	v_cndmask_b32_e64 v30, 0, v69, s[0:1]
	v_cmp_nlt_f32_e64 s[0:1], s21, v46
	s_waitcnt lgkmcnt(0)
	v_mul_f32_e32 v33, v68, v41
	v_cndmask_b32_e64 v30, v64, v30, s[0:1]
	v_fmac_f32_e32 v33, v25, v30
	v_ldexp_f32 v25, v29, v31
	v_mul_f32_e32 v29, v65, v11
	v_mul_f32_e32 v40, v68, v36
	;; [unrolled: 1-line block ×3, first 2 shown]
	v_fmac_f32_e32 v40, v32, v45
	v_fma_f32 v31, v29, s19, -v30
	v_rndne_f32_e32 v32, v30
	v_fmac_f32_e32 v31, 0x32a5705f, v29
	v_sub_f32_e32 v30, v30, v32
	v_add_f32_e32 v30, v30, v31
	v_cmp_ngt_f32_e64 s[0:1], s20, v47
	v_exp_f32_e32 v30, v30
	v_cvt_i32_f32_e32 v31, v32
	v_cndmask_b32_e64 v25, 0, v25, s[0:1]
	v_cmp_nlt_f32_e64 s[0:1], s21, v47
	v_mul_f32_e32 v34, v68, v42
	v_cndmask_b32_e64 v25, v64, v25, s[0:1]
	v_fmac_f32_e32 v34, v26, v25
	v_mul_f32_e32 v26, v65, v12
	v_ldexp_f32 v25, v30, v31
	v_mul_f32_e32 v30, 0x3fb8aa3b, v26
	v_fma_f32 v31, v26, s19, -v30
	v_rndne_f32_e32 v32, v30
	v_fmac_f32_e32 v31, 0x32a5705f, v26
	v_sub_f32_e32 v30, v30, v32
	v_add_f32_e32 v30, v30, v31
	v_exp_f32_e32 v30, v30
	v_cvt_i32_f32_e32 v31, v32
	v_cmp_ngt_f32_e64 s[0:1], s20, v29
	v_cndmask_b32_e64 v25, 0, v25, s[0:1]
	v_cmp_nlt_f32_e64 s[0:1], s21, v29
	v_mul_f32_e32 v35, v68, v43
	v_cndmask_b32_e64 v25, v64, v25, s[0:1]
	v_fmac_f32_e32 v35, v27, v25
	v_ldexp_f32 v25, v30, v31
	ds_read_b128 v[29:32], v52 offset:32
	v_cmp_ngt_f32_e64 s[0:1], s20, v26
	v_cndmask_b32_e64 v25, 0, v25, s[0:1]
	v_cmp_nlt_f32_e64 s[0:1], s21, v26
	v_mul_f32_e32 v36, v68, v44
	v_cndmask_b32_e64 v25, v64, v25, s[0:1]
	v_fmac_f32_e32 v36, v28, v25
	ds_read_b128 v[25:28], v52 offset:48
	s_waitcnt lgkmcnt(1)
	v_mul_f32_e32 v41, v68, v29
	v_mul_f32_e32 v29, v65, v13
	;; [unrolled: 1-line block ×3, first 2 shown]
	v_fma_f32 v43, v29, s19, -v42
	v_rndne_f32_e32 v44, v42
	v_fmac_f32_e32 v43, 0x32a5705f, v29
	v_sub_f32_e32 v42, v42, v44
	v_add_f32_e32 v42, v42, v43
	v_exp_f32_e32 v45, v42
	v_cvt_i32_f32_e32 v46, v44
	v_mul_f32_e32 v43, v68, v31
	v_mul_f32_e32 v31, v65, v14
	;; [unrolled: 1-line block ×5, first 2 shown]
	v_ldexp_f32 v30, v45, v46
	v_fma_f32 v45, v31, s19, -v32
	v_rndne_f32_e32 v46, v32
	v_fmac_f32_e32 v45, 0x32a5705f, v31
	v_sub_f32_e32 v32, v32, v46
	v_cmp_ngt_f32_e64 s[0:1], s20, v29
	v_add_f32_e32 v32, v32, v45
	v_cndmask_b32_e64 v30, 0, v30, s[0:1]
	v_exp_f32_e32 v32, v32
	v_cvt_i32_f32_e32 v45, v46
	v_cmp_nlt_f32_e64 s[0:1], s21, v29
	v_cndmask_b32_e64 v29, v64, v30, s[0:1]
	v_fmac_f32_e32 v41, v21, v29
	v_mul_f32_e32 v29, v65, v15
	v_mul_f32_e32 v30, 0x3fb8aa3b, v29
	v_ldexp_f32 v21, v32, v45
	v_fma_f32 v32, v29, s19, -v30
	v_rndne_f32_e32 v45, v30
	v_fmac_f32_e32 v32, 0x32a5705f, v29
	v_sub_f32_e32 v30, v30, v45
	v_add_f32_e32 v30, v30, v32
	v_cmp_ngt_f32_e64 s[0:1], s20, v31
	v_exp_f32_e32 v30, v30
	v_cvt_i32_f32_e32 v32, v45
	v_cndmask_b32_e64 v21, 0, v21, s[0:1]
	v_cmp_nlt_f32_e64 s[0:1], s21, v31
	v_cndmask_b32_e64 v21, v64, v21, s[0:1]
	v_fmac_f32_e32 v42, v22, v21
	v_mul_f32_e32 v22, v65, v16
	v_ldexp_f32 v21, v30, v32
	v_mul_f32_e32 v30, 0x3fb8aa3b, v22
	v_fma_f32 v31, v22, s19, -v30
	v_rndne_f32_e32 v32, v30
	v_fmac_f32_e32 v31, 0x32a5705f, v22
	v_sub_f32_e32 v30, v30, v32
	v_add_f32_e32 v30, v30, v31
	v_exp_f32_e32 v30, v30
	v_cvt_i32_f32_e32 v31, v32
	v_cmp_ngt_f32_e64 s[0:1], s20, v29
	v_cndmask_b32_e64 v21, 0, v21, s[0:1]
	v_cmp_nlt_f32_e64 s[0:1], s21, v29
	v_cndmask_b32_e64 v21, v64, v21, s[0:1]
	v_fmac_f32_e32 v43, v23, v21
	v_ldexp_f32 v21, v30, v31
	v_cmp_ngt_f32_e64 s[0:1], s20, v22
	v_cndmask_b32_e64 v21, 0, v21, s[0:1]
	v_cmp_nlt_f32_e64 s[0:1], s21, v22
	v_cndmask_b32_e64 v21, v64, v21, s[0:1]
	v_fmac_f32_e32 v44, v24, v21
	ds_read_b128 v[21:24], v52 offset:64
	s_waitcnt lgkmcnt(1)
	v_mul_f32_e32 v45, v68, v25
	v_mul_f32_e32 v46, v68, v26
	;; [unrolled: 1-line block ×4, first 2 shown]
	ds_read_b128 v[25:28], v52 offset:80
	s_waitcnt lgkmcnt(1)
	v_fma_f32 v29, v21, v37, 0
	v_fmac_f32_e32 v29, v22, v38
	v_fmac_f32_e32 v29, v23, v39
	;; [unrolled: 1-line block ×3, first 2 shown]
	ds_read_b128 v[21:24], v52 offset:96
	s_waitcnt lgkmcnt(1)
	v_fmac_f32_e32 v29, v25, v33
	v_fmac_f32_e32 v29, v26, v34
	;; [unrolled: 1-line block ×4, first 2 shown]
	ds_read_b128 v[25:28], v52 offset:112
	s_waitcnt lgkmcnt(1)
	v_fmac_f32_e32 v29, v21, v41
	v_mul_f32_e32 v21, v65, v17
	v_mul_f32_e32 v30, 0x3fb8aa3b, v21
	v_fma_f32 v31, v21, s19, -v30
	v_rndne_f32_e32 v32, v30
	v_fmac_f32_e32 v31, 0x32a5705f, v21
	v_sub_f32_e32 v30, v30, v32
	v_add_f32_e32 v30, v30, v31
	v_exp_f32_e32 v30, v30
	v_cvt_i32_f32_e32 v31, v32
	v_fmac_f32_e32 v29, v22, v42
	v_fmac_f32_e32 v29, v23, v43
	v_mul_f32_e32 v23, v65, v18
	v_fmac_f32_e32 v29, v24, v44
	v_mul_f32_e32 v24, 0x3fb8aa3b, v23
	v_ldexp_f32 v22, v30, v31
	v_fma_f32 v30, v23, s19, -v24
	v_rndne_f32_e32 v31, v24
	v_fmac_f32_e32 v30, 0x32a5705f, v23
	v_sub_f32_e32 v24, v24, v31
	v_cmp_ngt_f32_e64 s[0:1], s20, v21
	v_add_f32_e32 v24, v24, v30
	v_cndmask_b32_e64 v22, 0, v22, s[0:1]
	v_exp_f32_e32 v24, v24
	v_cvt_i32_f32_e32 v30, v31
	v_cmp_nlt_f32_e64 s[0:1], s21, v21
	v_cndmask_b32_e64 v21, v64, v22, s[0:1]
	v_fmac_f32_e32 v45, v1, v21
	v_mul_f32_e32 v21, v65, v19
	v_mul_f32_e32 v22, 0x3fb8aa3b, v21
	v_ldexp_f32 v1, v24, v30
	v_fma_f32 v24, v21, s19, -v22
	v_rndne_f32_e32 v30, v22
	v_fmac_f32_e32 v24, 0x32a5705f, v21
	v_sub_f32_e32 v22, v22, v30
	v_add_f32_e32 v22, v22, v24
	v_cmp_ngt_f32_e64 s[0:1], s20, v23
	v_exp_f32_e32 v22, v22
	v_cvt_i32_f32_e32 v24, v30
	v_cndmask_b32_e64 v1, 0, v1, s[0:1]
	v_cmp_nlt_f32_e64 s[0:1], s21, v23
	v_cndmask_b32_e64 v1, v64, v1, s[0:1]
	v_fmac_f32_e32 v46, v2, v1
	v_mul_f32_e32 v2, v65, v20
	v_ldexp_f32 v1, v22, v24
	v_mul_f32_e32 v22, 0x3fb8aa3b, v2
	v_fma_f32 v23, v2, s19, -v22
	v_rndne_f32_e32 v24, v22
	v_fmac_f32_e32 v23, 0x32a5705f, v2
	v_sub_f32_e32 v22, v22, v24
	v_add_f32_e32 v22, v22, v23
	v_exp_f32_e32 v22, v22
	v_cvt_i32_f32_e32 v23, v24
	v_cmp_ngt_f32_e64 s[0:1], s20, v21
	v_cndmask_b32_e64 v1, 0, v1, s[0:1]
	v_cmp_nlt_f32_e64 s[0:1], s21, v21
	v_cndmask_b32_e64 v1, v64, v1, s[0:1]
	v_fmac_f32_e32 v47, v3, v1
	v_ldexp_f32 v1, v22, v23
	v_cmp_ngt_f32_e64 s[0:1], s20, v2
	v_cndmask_b32_e64 v1, 0, v1, s[0:1]
	v_cmp_nlt_f32_e64 s[0:1], s21, v2
	s_waitcnt lgkmcnt(0)
	v_fmac_f32_e32 v29, v25, v45
	v_cndmask_b32_e64 v1, v64, v1, s[0:1]
	v_fmac_f32_e32 v29, v26, v46
	v_fmac_f32_e32 v48, v4, v1
	;; [unrolled: 1-line block ×4, first 2 shown]
	global_store_dword v[61:62], v29, off
	v_mov_b32_e32 v1, s3
	v_add_co_u32_e64 v61, s[0:1], s2, v61
	v_addc_co_u32_e64 v62, s[0:1], v62, v1, s[0:1]
	v_mov_b32_e32 v1, s5
	v_add_co_u32_e64 v59, s[0:1], s4, v59
	v_addc_co_u32_e64 v60, s[0:1], v60, v1, s[0:1]
	;; [unrolled: 3-line block ×5, first 2 shown]
	s_waitcnt vmcnt(0)
	s_barrier
	s_cbranch_scc1 .LBB10_8
; %bb.6:                                ;   in Loop: Header=BB10_3 Depth=1
	v_mov_b32_e32 v29, v37
	v_mov_b32_e32 v30, v38
	v_mov_b32_e32 v31, v39
	v_mov_b32_e32 v32, v40
	v_mov_b32_e32 v25, v33
	v_mov_b32_e32 v26, v34
	v_mov_b32_e32 v27, v35
	v_mov_b32_e32 v28, v36
	v_mov_b32_e32 v21, v41
	v_mov_b32_e32 v22, v42
	v_mov_b32_e32 v23, v43
	v_mov_b32_e32 v24, v44
	v_mov_b32_e32 v1, v45
	v_mov_b32_e32 v2, v46
	v_mov_b32_e32 v3, v47
	v_mov_b32_e32 v4, v48
	s_and_saveexec_b64 s[0:1], vcc
	s_cbranch_execnz .LBB10_2
	s_branch .LBB10_3
.LBB10_7:
	s_waitcnt vmcnt(0)
	v_mov_b32_e32 v48, v4
	v_mov_b32_e32 v47, v3
	;; [unrolled: 1-line block ×16, first 2 shown]
.LBB10_8:
	s_add_u32 s0, s22, s36
	s_addc_u32 s1, s23, s37
	s_mul_i32 s2, s25, s6
	s_add_u32 s0, s0, s2
	s_addc_u32 s1, s1, 0
	s_add_u32 s0, s0, s33
	s_addc_u32 s1, s1, s7
	v_mov_b32_e32 v1, s1
	v_add_co_u32_e32 v0, vcc, s0, v49
	v_addc_co_u32_e32 v1, vcc, v1, v50, vcc
	global_store_dwordx4 v[0:1], v[37:40], off
	global_store_dwordx4 v[0:1], v[33:36], off offset:16
	global_store_dwordx4 v[0:1], v[41:44], off offset:32
	global_store_dwordx4 v[0:1], v[45:48], off offset:48
	s_endpgm
	.section	.rodata,"a",@progbits
	.p2align	6, 0x0
	.amdhsa_kernel _Z12ssm_scan_f32ILm128ELm16ELm0EEvPKfS1_S1_S1_S1_S1_PKiPfiiiiiiiiiiilll
		.amdhsa_group_segment_fixed_size 128
		.amdhsa_private_segment_fixed_size 0
		.amdhsa_kernarg_size 136
		.amdhsa_user_sgpr_count 6
		.amdhsa_user_sgpr_private_segment_buffer 1
		.amdhsa_user_sgpr_dispatch_ptr 0
		.amdhsa_user_sgpr_queue_ptr 0
		.amdhsa_user_sgpr_kernarg_segment_ptr 1
		.amdhsa_user_sgpr_dispatch_id 0
		.amdhsa_user_sgpr_flat_scratch_init 0
		.amdhsa_user_sgpr_private_segment_size 0
		.amdhsa_uses_dynamic_stack 0
		.amdhsa_system_sgpr_private_segment_wavefront_offset 0
		.amdhsa_system_sgpr_workgroup_id_x 1
		.amdhsa_system_sgpr_workgroup_id_y 1
		.amdhsa_system_sgpr_workgroup_id_z 0
		.amdhsa_system_sgpr_workgroup_info 0
		.amdhsa_system_vgpr_workitem_id 0
		.amdhsa_next_free_vgpr 80
		.amdhsa_next_free_sgpr 40
		.amdhsa_reserve_vcc 1
		.amdhsa_reserve_flat_scratch 0
		.amdhsa_float_round_mode_32 0
		.amdhsa_float_round_mode_16_64 0
		.amdhsa_float_denorm_mode_32 3
		.amdhsa_float_denorm_mode_16_64 3
		.amdhsa_dx10_clamp 1
		.amdhsa_ieee_mode 1
		.amdhsa_fp16_overflow 0
		.amdhsa_exception_fp_ieee_invalid_op 0
		.amdhsa_exception_fp_denorm_src 0
		.amdhsa_exception_fp_ieee_div_zero 0
		.amdhsa_exception_fp_ieee_overflow 0
		.amdhsa_exception_fp_ieee_underflow 0
		.amdhsa_exception_fp_ieee_inexact 0
		.amdhsa_exception_int_div_zero 0
	.end_amdhsa_kernel
	.section	.text._Z12ssm_scan_f32ILm128ELm16ELm0EEvPKfS1_S1_S1_S1_S1_PKiPfiiiiiiiiiiilll,"axG",@progbits,_Z12ssm_scan_f32ILm128ELm16ELm0EEvPKfS1_S1_S1_S1_S1_PKiPfiiiiiiiiiiilll,comdat
.Lfunc_end10:
	.size	_Z12ssm_scan_f32ILm128ELm16ELm0EEvPKfS1_S1_S1_S1_S1_PKiPfiiiiiiiiiiilll, .Lfunc_end10-_Z12ssm_scan_f32ILm128ELm16ELm0EEvPKfS1_S1_S1_S1_S1_PKiPfiiiiiiiiiiilll
                                        ; -- End function
	.set _Z12ssm_scan_f32ILm128ELm16ELm0EEvPKfS1_S1_S1_S1_S1_PKiPfiiiiiiiiiiilll.num_vgpr, 80
	.set _Z12ssm_scan_f32ILm128ELm16ELm0EEvPKfS1_S1_S1_S1_S1_PKiPfiiiiiiiiiiilll.num_agpr, 0
	.set _Z12ssm_scan_f32ILm128ELm16ELm0EEvPKfS1_S1_S1_S1_S1_PKiPfiiiiiiiiiiilll.numbered_sgpr, 40
	.set _Z12ssm_scan_f32ILm128ELm16ELm0EEvPKfS1_S1_S1_S1_S1_PKiPfiiiiiiiiiiilll.num_named_barrier, 0
	.set _Z12ssm_scan_f32ILm128ELm16ELm0EEvPKfS1_S1_S1_S1_S1_PKiPfiiiiiiiiiiilll.private_seg_size, 0
	.set _Z12ssm_scan_f32ILm128ELm16ELm0EEvPKfS1_S1_S1_S1_S1_PKiPfiiiiiiiiiiilll.uses_vcc, 1
	.set _Z12ssm_scan_f32ILm128ELm16ELm0EEvPKfS1_S1_S1_S1_S1_PKiPfiiiiiiiiiiilll.uses_flat_scratch, 0
	.set _Z12ssm_scan_f32ILm128ELm16ELm0EEvPKfS1_S1_S1_S1_S1_PKiPfiiiiiiiiiiilll.has_dyn_sized_stack, 0
	.set _Z12ssm_scan_f32ILm128ELm16ELm0EEvPKfS1_S1_S1_S1_S1_PKiPfiiiiiiiiiiilll.has_recursion, 0
	.set _Z12ssm_scan_f32ILm128ELm16ELm0EEvPKfS1_S1_S1_S1_S1_PKiPfiiiiiiiiiiilll.has_indirect_call, 0
	.section	.AMDGPU.csdata,"",@progbits
; Kernel info:
; codeLenInByte = 3456
; TotalNumSgprs: 44
; NumVgprs: 80
; ScratchSize: 0
; MemoryBound: 0
; FloatMode: 240
; IeeeMode: 1
; LDSByteSize: 128 bytes/workgroup (compile time only)
; SGPRBlocks: 5
; VGPRBlocks: 19
; NumSGPRsForWavesPerEU: 44
; NumVGPRsForWavesPerEU: 80
; Occupancy: 3
; WaveLimiterHint : 1
; COMPUTE_PGM_RSRC2:SCRATCH_EN: 0
; COMPUTE_PGM_RSRC2:USER_SGPR: 6
; COMPUTE_PGM_RSRC2:TRAP_HANDLER: 0
; COMPUTE_PGM_RSRC2:TGID_X_EN: 1
; COMPUTE_PGM_RSRC2:TGID_Y_EN: 1
; COMPUTE_PGM_RSRC2:TGID_Z_EN: 0
; COMPUTE_PGM_RSRC2:TIDIG_COMP_CNT: 0
	.section	.AMDGPU.gpr_maximums,"",@progbits
	.set amdgpu.max_num_vgpr, 0
	.set amdgpu.max_num_agpr, 0
	.set amdgpu.max_num_sgpr, 0
	.section	.AMDGPU.csdata,"",@progbits
	.type	__hip_cuid_602106fd9c5e34e6,@object ; @__hip_cuid_602106fd9c5e34e6
	.section	.bss,"aw",@nobits
	.globl	__hip_cuid_602106fd9c5e34e6
__hip_cuid_602106fd9c5e34e6:
	.byte	0                               ; 0x0
	.size	__hip_cuid_602106fd9c5e34e6, 1

	.ident	"AMD clang version 22.0.0git (https://github.com/RadeonOpenCompute/llvm-project roc-7.2.4 26084 f58b06dce1f9c15707c5f808fd002e18c2accf7e)"
	.section	".note.GNU-stack","",@progbits
	.addrsig
	.addrsig_sym __hip_cuid_602106fd9c5e34e6
	.amdgpu_metadata
---
amdhsa.kernels:
  - .args:
      - .address_space:  global
        .offset:         0
        .size:           8
        .value_kind:     global_buffer
      - .address_space:  global
        .offset:         8
        .size:           8
        .value_kind:     global_buffer
      - .address_space:  global
        .offset:         16
        .size:           8
        .value_kind:     global_buffer
      - .address_space:  global
        .offset:         24
        .size:           8
        .value_kind:     global_buffer
      - .address_space:  global
        .offset:         32
        .size:           8
        .value_kind:     global_buffer
      - .address_space:  global
        .offset:         40
        .size:           8
        .value_kind:     global_buffer
      - .address_space:  global
        .offset:         48
        .size:           8
        .value_kind:     global_buffer
      - .address_space:  global
        .offset:         56
        .size:           8
        .value_kind:     global_buffer
      - .offset:         64
        .size:           4
        .value_kind:     by_value
      - .offset:         68
        .size:           4
        .value_kind:     by_value
      - .offset:         72
        .size:           4
        .value_kind:     by_value
      - .offset:         76
        .size:           4
        .value_kind:     by_value
      - .offset:         80
        .size:           4
        .value_kind:     by_value
      - .offset:         84
        .size:           4
        .value_kind:     by_value
      - .offset:         88
        .size:           4
        .value_kind:     by_value
      - .offset:         92
        .size:           4
        .value_kind:     by_value
      - .offset:         96
        .size:           4
        .value_kind:     by_value
      - .offset:         100
        .size:           4
        .value_kind:     by_value
      - .offset:         104
        .size:           4
        .value_kind:     by_value
      - .offset:         112
        .size:           8
        .value_kind:     by_value
      - .offset:         120
        .size:           8
        .value_kind:     by_value
      - .offset:         128
        .size:           8
        .value_kind:     by_value
      - .offset:         136
        .size:           8
        .value_kind:     by_value
      - .offset:         144
        .size:           8
        .value_kind:     by_value
    .group_segment_fixed_size: 0
    .kernarg_segment_align: 8
    .kernarg_segment_size: 152
    .language:       OpenCL C
    .language_version:
      - 2
      - 0
    .max_flat_workgroup_size: 128
    .name:           _Z18ssm_scan_f32_groupILi4ELi128EEvPKfS1_S1_S1_S1_S1_PKiPfiiiiiiiiiiilllll
    .private_segment_fixed_size: 0
    .sgpr_count:     57
    .sgpr_spill_count: 0
    .symbol:         _Z18ssm_scan_f32_groupILi4ELi128EEvPKfS1_S1_S1_S1_S1_PKiPfiiiiiiiiiiilllll.kd
    .uniform_work_group_size: 1
    .uses_dynamic_stack: false
    .vgpr_count:     44
    .vgpr_spill_count: 0
    .wavefront_size: 64
  - .args:
      - .address_space:  global
        .offset:         0
        .size:           8
        .value_kind:     global_buffer
      - .address_space:  global
        .offset:         8
        .size:           8
        .value_kind:     global_buffer
      - .address_space:  global
        .offset:         16
        .size:           8
        .value_kind:     global_buffer
      - .address_space:  global
        .offset:         24
        .size:           8
        .value_kind:     global_buffer
      - .address_space:  global
        .offset:         32
        .size:           8
        .value_kind:     global_buffer
      - .address_space:  global
        .offset:         40
        .size:           8
        .value_kind:     global_buffer
      - .address_space:  global
        .offset:         48
        .size:           8
        .value_kind:     global_buffer
      - .address_space:  global
        .offset:         56
        .size:           8
        .value_kind:     global_buffer
      - .offset:         64
        .size:           4
        .value_kind:     by_value
      - .offset:         68
        .size:           4
        .value_kind:     by_value
      - .offset:         72
        .size:           4
        .value_kind:     by_value
      - .offset:         76
        .size:           4
        .value_kind:     by_value
      - .offset:         80
        .size:           4
        .value_kind:     by_value
      - .offset:         84
        .size:           4
        .value_kind:     by_value
      - .offset:         88
        .size:           4
        .value_kind:     by_value
      - .offset:         92
        .size:           4
        .value_kind:     by_value
      - .offset:         96
        .size:           4
        .value_kind:     by_value
      - .offset:         100
        .size:           4
        .value_kind:     by_value
      - .offset:         104
        .size:           4
        .value_kind:     by_value
      - .offset:         112
        .size:           8
        .value_kind:     by_value
      - .offset:         120
        .size:           8
        .value_kind:     by_value
      - .offset:         128
        .size:           8
        .value_kind:     by_value
      - .offset:         136
        .size:           8
        .value_kind:     by_value
      - .offset:         144
        .size:           8
        .value_kind:     by_value
    .group_segment_fixed_size: 0
    .kernarg_segment_align: 8
    .kernarg_segment_size: 152
    .language:       OpenCL C
    .language_version:
      - 2
      - 0
    .max_flat_workgroup_size: 256
    .name:           _Z18ssm_scan_f32_groupILi8ELi256EEvPKfS1_S1_S1_S1_S1_PKiPfiiiiiiiiiiilllll
    .private_segment_fixed_size: 0
    .sgpr_count:     57
    .sgpr_spill_count: 0
    .symbol:         _Z18ssm_scan_f32_groupILi8ELi256EEvPKfS1_S1_S1_S1_S1_PKiPfiiiiiiiiiiilllll.kd
    .uniform_work_group_size: 1
    .uses_dynamic_stack: false
    .vgpr_count:     57
    .vgpr_spill_count: 0
    .wavefront_size: 64
  - .args:
      - .address_space:  global
        .offset:         0
        .size:           8
        .value_kind:     global_buffer
      - .address_space:  global
        .offset:         8
        .size:           8
        .value_kind:     global_buffer
      - .address_space:  global
        .offset:         16
        .size:           8
        .value_kind:     global_buffer
      - .address_space:  global
        .offset:         24
        .size:           8
        .value_kind:     global_buffer
      - .address_space:  global
        .offset:         32
        .size:           8
        .value_kind:     global_buffer
      - .address_space:  global
        .offset:         40
        .size:           8
        .value_kind:     global_buffer
      - .address_space:  global
        .offset:         48
        .size:           8
        .value_kind:     global_buffer
      - .address_space:  global
        .offset:         56
        .size:           8
        .value_kind:     global_buffer
      - .offset:         64
        .size:           4
        .value_kind:     by_value
      - .offset:         68
        .size:           4
        .value_kind:     by_value
      - .offset:         72
        .size:           4
        .value_kind:     by_value
      - .offset:         76
        .size:           4
        .value_kind:     by_value
      - .offset:         80
        .size:           4
        .value_kind:     by_value
      - .offset:         84
        .size:           4
        .value_kind:     by_value
      - .offset:         88
        .size:           4
        .value_kind:     by_value
      - .offset:         92
        .size:           4
        .value_kind:     by_value
      - .offset:         96
        .size:           4
        .value_kind:     by_value
      - .offset:         100
        .size:           4
        .value_kind:     by_value
      - .offset:         104
        .size:           4
        .value_kind:     by_value
      - .offset:         112
        .size:           8
        .value_kind:     by_value
      - .offset:         120
        .size:           8
        .value_kind:     by_value
      - .offset:         128
        .size:           8
        .value_kind:     by_value
    .group_segment_fixed_size: 128
    .kernarg_segment_align: 8
    .kernarg_segment_size: 136
    .language:       OpenCL C
    .language_version:
      - 2
      - 0
    .max_flat_workgroup_size: 128
    .name:           _Z12ssm_scan_f32ILm128ELm16ELm1EEvPKfS1_S1_S1_S1_S1_PKiPfiiiiiiiiiiilll
    .private_segment_fixed_size: 0
    .sgpr_count:     33
    .sgpr_spill_count: 0
    .symbol:         _Z12ssm_scan_f32ILm128ELm16ELm1EEvPKfS1_S1_S1_S1_S1_PKiPfiiiiiiiiiiilll.kd
    .uniform_work_group_size: 1
    .uses_dynamic_stack: false
    .vgpr_count:     59
    .vgpr_spill_count: 0
    .wavefront_size: 64
  - .args:
      - .address_space:  global
        .offset:         0
        .size:           8
        .value_kind:     global_buffer
      - .address_space:  global
        .offset:         8
        .size:           8
        .value_kind:     global_buffer
      - .address_space:  global
        .offset:         16
        .size:           8
        .value_kind:     global_buffer
      - .address_space:  global
        .offset:         24
        .size:           8
        .value_kind:     global_buffer
      - .address_space:  global
        .offset:         32
        .size:           8
        .value_kind:     global_buffer
      - .address_space:  global
        .offset:         40
        .size:           8
        .value_kind:     global_buffer
      - .address_space:  global
        .offset:         48
        .size:           8
        .value_kind:     global_buffer
      - .address_space:  global
        .offset:         56
        .size:           8
        .value_kind:     global_buffer
      - .offset:         64
        .size:           4
        .value_kind:     by_value
      - .offset:         68
        .size:           4
        .value_kind:     by_value
      - .offset:         72
        .size:           4
        .value_kind:     by_value
      - .offset:         76
        .size:           4
        .value_kind:     by_value
      - .offset:         80
        .size:           4
        .value_kind:     by_value
      - .offset:         84
        .size:           4
        .value_kind:     by_value
      - .offset:         88
        .size:           4
        .value_kind:     by_value
      - .offset:         92
        .size:           4
        .value_kind:     by_value
      - .offset:         96
        .size:           4
        .value_kind:     by_value
      - .offset:         100
        .size:           4
        .value_kind:     by_value
      - .offset:         104
        .size:           4
        .value_kind:     by_value
      - .offset:         112
        .size:           8
        .value_kind:     by_value
      - .offset:         120
        .size:           8
        .value_kind:     by_value
      - .offset:         128
        .size:           8
        .value_kind:     by_value
    .group_segment_fixed_size: 128
    .kernarg_segment_align: 8
    .kernarg_segment_size: 136
    .language:       OpenCL C
    .language_version:
      - 2
      - 0
    .max_flat_workgroup_size: 128
    .name:           _Z12ssm_scan_f32ILm128ELm16ELm2EEvPKfS1_S1_S1_S1_S1_PKiPfiiiiiiiiiiilll
    .private_segment_fixed_size: 0
    .sgpr_count:     48
    .sgpr_spill_count: 0
    .symbol:         _Z12ssm_scan_f32ILm128ELm16ELm2EEvPKfS1_S1_S1_S1_S1_PKiPfiiiiiiiiiiilll.kd
    .uniform_work_group_size: 1
    .uses_dynamic_stack: false
    .vgpr_count:     67
    .vgpr_spill_count: 0
    .wavefront_size: 64
  - .args:
      - .address_space:  global
        .offset:         0
        .size:           8
        .value_kind:     global_buffer
      - .address_space:  global
        .offset:         8
        .size:           8
        .value_kind:     global_buffer
      - .address_space:  global
        .offset:         16
        .size:           8
        .value_kind:     global_buffer
      - .address_space:  global
        .offset:         24
        .size:           8
        .value_kind:     global_buffer
      - .address_space:  global
        .offset:         32
        .size:           8
        .value_kind:     global_buffer
      - .address_space:  global
        .offset:         40
        .size:           8
        .value_kind:     global_buffer
      - .address_space:  global
        .offset:         48
        .size:           8
        .value_kind:     global_buffer
      - .address_space:  global
        .offset:         56
        .size:           8
        .value_kind:     global_buffer
      - .offset:         64
        .size:           4
        .value_kind:     by_value
      - .offset:         68
        .size:           4
        .value_kind:     by_value
      - .offset:         72
        .size:           4
        .value_kind:     by_value
      - .offset:         76
        .size:           4
        .value_kind:     by_value
      - .offset:         80
        .size:           4
        .value_kind:     by_value
      - .offset:         84
        .size:           4
        .value_kind:     by_value
      - .offset:         88
        .size:           4
        .value_kind:     by_value
      - .offset:         92
        .size:           4
        .value_kind:     by_value
      - .offset:         96
        .size:           4
        .value_kind:     by_value
      - .offset:         100
        .size:           4
        .value_kind:     by_value
      - .offset:         104
        .size:           4
        .value_kind:     by_value
      - .offset:         112
        .size:           8
        .value_kind:     by_value
      - .offset:         120
        .size:           8
        .value_kind:     by_value
      - .offset:         128
        .size:           8
        .value_kind:     by_value
    .group_segment_fixed_size: 128
    .kernarg_segment_align: 8
    .kernarg_segment_size: 136
    .language:       OpenCL C
    .language_version:
      - 2
      - 0
    .max_flat_workgroup_size: 128
    .name:           _Z12ssm_scan_f32ILm128ELm16ELm3EEvPKfS1_S1_S1_S1_S1_PKiPfiiiiiiiiiiilll
    .private_segment_fixed_size: 0
    .sgpr_count:     48
    .sgpr_spill_count: 0
    .symbol:         _Z12ssm_scan_f32ILm128ELm16ELm3EEvPKfS1_S1_S1_S1_S1_PKiPfiiiiiiiiiiilll.kd
    .uniform_work_group_size: 1
    .uses_dynamic_stack: false
    .vgpr_count:     67
    .vgpr_spill_count: 0
    .wavefront_size: 64
  - .args:
      - .address_space:  global
        .offset:         0
        .size:           8
        .value_kind:     global_buffer
      - .address_space:  global
        .offset:         8
        .size:           8
        .value_kind:     global_buffer
      - .address_space:  global
        .offset:         16
        .size:           8
        .value_kind:     global_buffer
      - .address_space:  global
        .offset:         24
        .size:           8
        .value_kind:     global_buffer
      - .address_space:  global
        .offset:         32
        .size:           8
        .value_kind:     global_buffer
      - .address_space:  global
        .offset:         40
        .size:           8
        .value_kind:     global_buffer
      - .address_space:  global
        .offset:         48
        .size:           8
        .value_kind:     global_buffer
      - .address_space:  global
        .offset:         56
        .size:           8
        .value_kind:     global_buffer
      - .offset:         64
        .size:           4
        .value_kind:     by_value
      - .offset:         68
        .size:           4
        .value_kind:     by_value
      - .offset:         72
        .size:           4
        .value_kind:     by_value
      - .offset:         76
        .size:           4
        .value_kind:     by_value
      - .offset:         80
        .size:           4
        .value_kind:     by_value
      - .offset:         84
        .size:           4
        .value_kind:     by_value
      - .offset:         88
        .size:           4
        .value_kind:     by_value
      - .offset:         92
        .size:           4
        .value_kind:     by_value
      - .offset:         96
        .size:           4
        .value_kind:     by_value
      - .offset:         100
        .size:           4
        .value_kind:     by_value
      - .offset:         104
        .size:           4
        .value_kind:     by_value
      - .offset:         112
        .size:           8
        .value_kind:     by_value
      - .offset:         120
        .size:           8
        .value_kind:     by_value
      - .offset:         128
        .size:           8
        .value_kind:     by_value
    .group_segment_fixed_size: 128
    .kernarg_segment_align: 8
    .kernarg_segment_size: 136
    .language:       OpenCL C
    .language_version:
      - 2
      - 0
    .max_flat_workgroup_size: 128
    .name:           _Z12ssm_scan_f32ILm128ELm16ELm4EEvPKfS1_S1_S1_S1_S1_PKiPfiiiiiiiiiiilll
    .private_segment_fixed_size: 0
    .sgpr_count:     48
    .sgpr_spill_count: 0
    .symbol:         _Z12ssm_scan_f32ILm128ELm16ELm4EEvPKfS1_S1_S1_S1_S1_PKiPfiiiiiiiiiiilll.kd
    .uniform_work_group_size: 1
    .uses_dynamic_stack: false
    .vgpr_count:     79
    .vgpr_spill_count: 0
    .wavefront_size: 64
  - .args:
      - .address_space:  global
        .offset:         0
        .size:           8
        .value_kind:     global_buffer
      - .address_space:  global
        .offset:         8
        .size:           8
        .value_kind:     global_buffer
      - .address_space:  global
        .offset:         16
        .size:           8
        .value_kind:     global_buffer
      - .address_space:  global
        .offset:         24
        .size:           8
        .value_kind:     global_buffer
      - .address_space:  global
        .offset:         32
        .size:           8
        .value_kind:     global_buffer
      - .address_space:  global
        .offset:         40
        .size:           8
        .value_kind:     global_buffer
      - .address_space:  global
        .offset:         48
        .size:           8
        .value_kind:     global_buffer
      - .address_space:  global
        .offset:         56
        .size:           8
        .value_kind:     global_buffer
      - .offset:         64
        .size:           4
        .value_kind:     by_value
      - .offset:         68
        .size:           4
        .value_kind:     by_value
      - .offset:         72
        .size:           4
        .value_kind:     by_value
      - .offset:         76
        .size:           4
        .value_kind:     by_value
      - .offset:         80
        .size:           4
        .value_kind:     by_value
      - .offset:         84
        .size:           4
        .value_kind:     by_value
      - .offset:         88
        .size:           4
        .value_kind:     by_value
      - .offset:         92
        .size:           4
        .value_kind:     by_value
      - .offset:         96
        .size:           4
        .value_kind:     by_value
      - .offset:         100
        .size:           4
        .value_kind:     by_value
      - .offset:         104
        .size:           4
        .value_kind:     by_value
      - .offset:         112
        .size:           8
        .value_kind:     by_value
      - .offset:         120
        .size:           8
        .value_kind:     by_value
      - .offset:         128
        .size:           8
        .value_kind:     by_value
    .group_segment_fixed_size: 128
    .kernarg_segment_align: 8
    .kernarg_segment_size: 136
    .language:       OpenCL C
    .language_version:
      - 2
      - 0
    .max_flat_workgroup_size: 128
    .name:           _Z12ssm_scan_f32ILm128ELm16ELm5EEvPKfS1_S1_S1_S1_S1_PKiPfiiiiiiiiiiilll
    .private_segment_fixed_size: 0
    .sgpr_count:     48
    .sgpr_spill_count: 0
    .symbol:         _Z12ssm_scan_f32ILm128ELm16ELm5EEvPKfS1_S1_S1_S1_S1_PKiPfiiiiiiiiiiilll.kd
    .uniform_work_group_size: 1
    .uses_dynamic_stack: false
    .vgpr_count:     68
    .vgpr_spill_count: 0
    .wavefront_size: 64
  - .args:
      - .address_space:  global
        .offset:         0
        .size:           8
        .value_kind:     global_buffer
      - .address_space:  global
        .offset:         8
        .size:           8
        .value_kind:     global_buffer
      - .address_space:  global
        .offset:         16
        .size:           8
        .value_kind:     global_buffer
      - .address_space:  global
        .offset:         24
        .size:           8
        .value_kind:     global_buffer
      - .address_space:  global
        .offset:         32
        .size:           8
        .value_kind:     global_buffer
      - .address_space:  global
        .offset:         40
        .size:           8
        .value_kind:     global_buffer
      - .address_space:  global
        .offset:         48
        .size:           8
        .value_kind:     global_buffer
      - .address_space:  global
        .offset:         56
        .size:           8
        .value_kind:     global_buffer
      - .offset:         64
        .size:           4
        .value_kind:     by_value
      - .offset:         68
        .size:           4
        .value_kind:     by_value
      - .offset:         72
        .size:           4
        .value_kind:     by_value
      - .offset:         76
        .size:           4
        .value_kind:     by_value
      - .offset:         80
        .size:           4
        .value_kind:     by_value
      - .offset:         84
        .size:           4
        .value_kind:     by_value
      - .offset:         88
        .size:           4
        .value_kind:     by_value
      - .offset:         92
        .size:           4
        .value_kind:     by_value
      - .offset:         96
        .size:           4
        .value_kind:     by_value
      - .offset:         100
        .size:           4
        .value_kind:     by_value
      - .offset:         104
        .size:           4
        .value_kind:     by_value
      - .offset:         112
        .size:           8
        .value_kind:     by_value
      - .offset:         120
        .size:           8
        .value_kind:     by_value
      - .offset:         128
        .size:           8
        .value_kind:     by_value
    .group_segment_fixed_size: 128
    .kernarg_segment_align: 8
    .kernarg_segment_size: 136
    .language:       OpenCL C
    .language_version:
      - 2
      - 0
    .max_flat_workgroup_size: 128
    .name:           _Z12ssm_scan_f32ILm128ELm16ELm6EEvPKfS1_S1_S1_S1_S1_PKiPfiiiiiiiiiiilll
    .private_segment_fixed_size: 0
    .sgpr_count:     48
    .sgpr_spill_count: 0
    .symbol:         _Z12ssm_scan_f32ILm128ELm16ELm6EEvPKfS1_S1_S1_S1_S1_PKiPfiiiiiiiiiiilll.kd
    .uniform_work_group_size: 1
    .uses_dynamic_stack: false
    .vgpr_count:     79
    .vgpr_spill_count: 0
    .wavefront_size: 64
  - .args:
      - .address_space:  global
        .offset:         0
        .size:           8
        .value_kind:     global_buffer
      - .address_space:  global
        .offset:         8
        .size:           8
        .value_kind:     global_buffer
      - .address_space:  global
        .offset:         16
        .size:           8
        .value_kind:     global_buffer
      - .address_space:  global
        .offset:         24
        .size:           8
        .value_kind:     global_buffer
      - .address_space:  global
        .offset:         32
        .size:           8
        .value_kind:     global_buffer
      - .address_space:  global
        .offset:         40
        .size:           8
        .value_kind:     global_buffer
      - .address_space:  global
        .offset:         48
        .size:           8
        .value_kind:     global_buffer
      - .address_space:  global
        .offset:         56
        .size:           8
        .value_kind:     global_buffer
      - .offset:         64
        .size:           4
        .value_kind:     by_value
      - .offset:         68
        .size:           4
        .value_kind:     by_value
      - .offset:         72
        .size:           4
        .value_kind:     by_value
      - .offset:         76
        .size:           4
        .value_kind:     by_value
      - .offset:         80
        .size:           4
        .value_kind:     by_value
      - .offset:         84
        .size:           4
        .value_kind:     by_value
      - .offset:         88
        .size:           4
        .value_kind:     by_value
      - .offset:         92
        .size:           4
        .value_kind:     by_value
      - .offset:         96
        .size:           4
        .value_kind:     by_value
      - .offset:         100
        .size:           4
        .value_kind:     by_value
      - .offset:         104
        .size:           4
        .value_kind:     by_value
      - .offset:         112
        .size:           8
        .value_kind:     by_value
      - .offset:         120
        .size:           8
        .value_kind:     by_value
      - .offset:         128
        .size:           8
        .value_kind:     by_value
    .group_segment_fixed_size: 128
    .kernarg_segment_align: 8
    .kernarg_segment_size: 136
    .language:       OpenCL C
    .language_version:
      - 2
      - 0
    .max_flat_workgroup_size: 128
    .name:           _Z12ssm_scan_f32ILm128ELm16ELm7EEvPKfS1_S1_S1_S1_S1_PKiPfiiiiiiiiiiilll
    .private_segment_fixed_size: 0
    .sgpr_count:     48
    .sgpr_spill_count: 0
    .symbol:         _Z12ssm_scan_f32ILm128ELm16ELm7EEvPKfS1_S1_S1_S1_S1_PKiPfiiiiiiiiiiilll.kd
    .uniform_work_group_size: 1
    .uses_dynamic_stack: false
    .vgpr_count:     79
    .vgpr_spill_count: 0
    .wavefront_size: 64
  - .args:
      - .address_space:  global
        .offset:         0
        .size:           8
        .value_kind:     global_buffer
      - .address_space:  global
        .offset:         8
        .size:           8
        .value_kind:     global_buffer
      - .address_space:  global
        .offset:         16
        .size:           8
        .value_kind:     global_buffer
      - .address_space:  global
        .offset:         24
        .size:           8
        .value_kind:     global_buffer
      - .address_space:  global
        .offset:         32
        .size:           8
        .value_kind:     global_buffer
      - .address_space:  global
        .offset:         40
        .size:           8
        .value_kind:     global_buffer
      - .address_space:  global
        .offset:         48
        .size:           8
        .value_kind:     global_buffer
      - .address_space:  global
        .offset:         56
        .size:           8
        .value_kind:     global_buffer
      - .offset:         64
        .size:           4
        .value_kind:     by_value
      - .offset:         68
        .size:           4
        .value_kind:     by_value
      - .offset:         72
        .size:           4
        .value_kind:     by_value
      - .offset:         76
        .size:           4
        .value_kind:     by_value
      - .offset:         80
        .size:           4
        .value_kind:     by_value
      - .offset:         84
        .size:           4
        .value_kind:     by_value
      - .offset:         88
        .size:           4
        .value_kind:     by_value
      - .offset:         92
        .size:           4
        .value_kind:     by_value
      - .offset:         96
        .size:           4
        .value_kind:     by_value
      - .offset:         100
        .size:           4
        .value_kind:     by_value
      - .offset:         104
        .size:           4
        .value_kind:     by_value
      - .offset:         112
        .size:           8
        .value_kind:     by_value
      - .offset:         120
        .size:           8
        .value_kind:     by_value
      - .offset:         128
        .size:           8
        .value_kind:     by_value
    .group_segment_fixed_size: 128
    .kernarg_segment_align: 8
    .kernarg_segment_size: 136
    .language:       OpenCL C
    .language_version:
      - 2
      - 0
    .max_flat_workgroup_size: 128
    .name:           _Z12ssm_scan_f32ILm128ELm16ELm8EEvPKfS1_S1_S1_S1_S1_PKiPfiiiiiiiiiiilll
    .private_segment_fixed_size: 0
    .sgpr_count:     48
    .sgpr_spill_count: 0
    .symbol:         _Z12ssm_scan_f32ILm128ELm16ELm8EEvPKfS1_S1_S1_S1_S1_PKiPfiiiiiiiiiiilll.kd
    .uniform_work_group_size: 1
    .uses_dynamic_stack: false
    .vgpr_count:     79
    .vgpr_spill_count: 0
    .wavefront_size: 64
  - .args:
      - .address_space:  global
        .offset:         0
        .size:           8
        .value_kind:     global_buffer
      - .address_space:  global
        .offset:         8
        .size:           8
        .value_kind:     global_buffer
      - .address_space:  global
        .offset:         16
        .size:           8
        .value_kind:     global_buffer
      - .address_space:  global
        .offset:         24
        .size:           8
        .value_kind:     global_buffer
      - .address_space:  global
        .offset:         32
        .size:           8
        .value_kind:     global_buffer
      - .address_space:  global
        .offset:         40
        .size:           8
        .value_kind:     global_buffer
      - .address_space:  global
        .offset:         48
        .size:           8
        .value_kind:     global_buffer
      - .address_space:  global
        .offset:         56
        .size:           8
        .value_kind:     global_buffer
      - .offset:         64
        .size:           4
        .value_kind:     by_value
      - .offset:         68
        .size:           4
        .value_kind:     by_value
      - .offset:         72
        .size:           4
        .value_kind:     by_value
      - .offset:         76
        .size:           4
        .value_kind:     by_value
      - .offset:         80
        .size:           4
        .value_kind:     by_value
      - .offset:         84
        .size:           4
        .value_kind:     by_value
      - .offset:         88
        .size:           4
        .value_kind:     by_value
      - .offset:         92
        .size:           4
        .value_kind:     by_value
      - .offset:         96
        .size:           4
        .value_kind:     by_value
      - .offset:         100
        .size:           4
        .value_kind:     by_value
      - .offset:         104
        .size:           4
        .value_kind:     by_value
      - .offset:         112
        .size:           8
        .value_kind:     by_value
      - .offset:         120
        .size:           8
        .value_kind:     by_value
      - .offset:         128
        .size:           8
        .value_kind:     by_value
    .group_segment_fixed_size: 128
    .kernarg_segment_align: 8
    .kernarg_segment_size: 136
    .language:       OpenCL C
    .language_version:
      - 2
      - 0
    .max_flat_workgroup_size: 128
    .name:           _Z12ssm_scan_f32ILm128ELm16ELm0EEvPKfS1_S1_S1_S1_S1_PKiPfiiiiiiiiiiilll
    .private_segment_fixed_size: 0
    .sgpr_count:     44
    .sgpr_spill_count: 0
    .symbol:         _Z12ssm_scan_f32ILm128ELm16ELm0EEvPKfS1_S1_S1_S1_S1_PKiPfiiiiiiiiiiilll.kd
    .uniform_work_group_size: 1
    .uses_dynamic_stack: false
    .vgpr_count:     80
    .vgpr_spill_count: 0
    .wavefront_size: 64
amdhsa.target:   amdgcn-amd-amdhsa--gfx906
amdhsa.version:
  - 1
  - 2
...

	.end_amdgpu_metadata
